;; amdgpu-corpus repo=ROCm/rocBLAS kind=compiled arch=gfx90a opt=O3
	.text
	.amdgcn_target "amdgcn-amd-amdhsa--gfx90a"
	.amdhsa_code_object_version 6
	.section	.text._ZL18rocblas_trtri_fillILi128EfPfEvP15_rocblas_handle13rocblas_fill_ililT1_llii,"axG",@progbits,_ZL18rocblas_trtri_fillILi128EfPfEvP15_rocblas_handle13rocblas_fill_ililT1_llii,comdat
	.globl	_ZL18rocblas_trtri_fillILi128EfPfEvP15_rocblas_handle13rocblas_fill_ililT1_llii ; -- Begin function _ZL18rocblas_trtri_fillILi128EfPfEvP15_rocblas_handle13rocblas_fill_ililT1_llii
	.p2align	8
	.type	_ZL18rocblas_trtri_fillILi128EfPfEvP15_rocblas_handle13rocblas_fill_ililT1_llii,@function
_ZL18rocblas_trtri_fillILi128EfPfEvP15_rocblas_handle13rocblas_fill_ililT1_llii: ; @_ZL18rocblas_trtri_fillILi128EfPfEvP15_rocblas_handle13rocblas_fill_ililT1_llii
; %bb.0:
	s_load_dword s1, s[4:5], 0x40
	s_load_dwordx2 s[2:3], s[4:5], 0x10
	s_mov_b32 s0, s6
	s_waitcnt lgkmcnt(0)
	s_ashr_i32 s6, s1, 31
	s_mul_i32 s8, s1, s3
	s_mul_hi_u32 s9, s1, s2
	s_mul_i32 s16, s1, s2
	s_mov_b32 s1, 0
	s_add_i32 s8, s9, s8
	s_mul_i32 s6, s6, s2
	s_lshl_b64 s[0:1], s[0:1], 7
	s_add_i32 s17, s8, s6
	v_or_b32_e32 v0, s0, v0
	v_mov_b32_e32 v1, s1
	v_cmp_gt_u64_e32 vcc, s[16:17], v[0:1]
	s_and_saveexec_b64 s[0:1], vcc
	s_cbranch_execz .LBB0_16
; %bb.1:
	v_cvt_f32_u32_e32 v5, s2
	v_cvt_f32_u32_e32 v6, s3
	s_load_dword s18, s[4:5], 0x18
	s_load_dwordx8 s[8:15], s[4:5], 0x20
	s_load_dwordx2 s[20:21], s[4:5], 0x8
	v_mov_b32_e32 v4, 0
	v_mov_b32_e32 v15, 0x260
	v_mac_f32_e32 v5, 0x4f800000, v6
	s_waitcnt lgkmcnt(0)
	s_mul_i32 s0, s7, s15
	s_mul_hi_u32 s1, s7, s14
	v_rcp_f32_e32 v5, v5
	v_cvt_f32_u32_e32 v6, s2
	s_add_i32 s1, s1, s0
	s_mul_i32 s0, s7, s14
	s_ashr_i32 s19, s18, 31
	s_lshl_b64 s[0:1], s[0:1], 2
	s_add_u32 s6, s10, s0
	s_addc_u32 s7, s11, s1
	s_lshl_b64 s[0:1], s[12:13], 2
	v_mul_f32_e32 v5, 0x5f7ffffc, v5
	v_rcp_iflag_f32_e32 v6, v6
	s_add_u32 s14, s6, s0
	v_mul_f32_e32 v7, 0x2f800000, v5
	s_addc_u32 s15, s7, s1
	s_add_i32 s0, s21, -2
	s_load_dword s6, s[4:5], 0x48
	s_load_dword s7, s[4:5], 0x54
	v_trunc_f32_e32 v7, v7
	v_cvt_f64_i32_e32 v[2:3], s0
	s_add_i32 s0, s21, -1
	v_mac_f32_e32 v5, 0xcf800000, v7
	s_mul_hi_i32 s1, s0, s21
	s_mul_i32 s0, s0, s21
	v_cvt_u32_f32_e32 v12, v5
	v_mul_f32_e32 v5, 0x4f7ffffe, v6
	s_ashr_i32 s22, s21, 31
	s_lshl_b64 s[4:5], s[0:1], 2
	v_cvt_u32_f32_e32 v13, v7
	v_cvt_u32_f32_e32 v14, v5
	s_mov_b32 s23, s21
	s_add_u32 s21, s4, -7
	s_addc_u32 s24, s5, -1
	s_lshr_b64 s[4:5], s[0:1], 1
	s_waitcnt lgkmcnt(0)
	s_and_b32 s0, s7, 0xffff
	s_mov_b32 s10, 0
	s_mul_hi_u32 s25, s0, s6
	s_mul_i32 s26, s0, s6
	s_mov_b64 s[6:7], 0
	s_brev_b32 s11, 8
	s_movk_i32 s27, 0xffe0
	v_mov_b32_e32 v16, 0xffffff80
	s_branch .LBB0_3
.LBB0_2:                                ;   in Loop: Header=BB0_3 Depth=1
	v_mov_b32_e32 v5, s25
	v_add_co_u32_e32 v0, vcc, s26, v0
	v_addc_co_u32_e32 v1, vcc, v1, v5, vcc
	v_cmp_le_u64_e32 vcc, s[16:17], v[0:1]
	s_or_b64 s[6:7], vcc, s[6:7]
	s_andn2_b64 exec, exec, s[6:7]
	s_cbranch_execz .LBB0_16
.LBB0_3:                                ; =>This Inner Loop Header: Depth=1
	v_or_b32_e32 v5, s3, v1
	v_cmp_ne_u64_e32 vcc, 0, v[4:5]
                                        ; implicit-def: $vgpr6_vgpr7
	s_and_saveexec_b64 s[0:1], vcc
	s_xor_b64 s[12:13], exec, s[0:1]
	s_cbranch_execz .LBB0_5
; %bb.4:                                ;   in Loop: Header=BB0_3 Depth=1
	s_sub_u32 s0, 0, s2
	s_subb_u32 s1, 0, s3
	v_mul_hi_u32 v6, s0, v12
	v_mul_lo_u32 v7, s0, v13
	v_mul_lo_u32 v5, s1, v12
	v_add_u32_e32 v6, v6, v7
	v_add_u32_e32 v5, v6, v5
	v_mul_lo_u32 v8, s0, v12
	v_mul_lo_u32 v7, v12, v5
	v_mul_hi_u32 v9, v12, v8
	v_mul_hi_u32 v6, v12, v5
	v_add_co_u32_e32 v7, vcc, v9, v7
	v_addc_co_u32_e32 v6, vcc, 0, v6, vcc
	v_mul_hi_u32 v10, v13, v8
	v_mul_lo_u32 v8, v13, v8
	v_add_co_u32_e32 v7, vcc, v7, v8
	v_mul_hi_u32 v9, v13, v5
	v_addc_co_u32_e32 v6, vcc, v6, v10, vcc
	v_addc_co_u32_e32 v7, vcc, 0, v9, vcc
	v_mul_lo_u32 v5, v13, v5
	v_add_co_u32_e32 v5, vcc, v6, v5
	v_addc_co_u32_e32 v6, vcc, 0, v7, vcc
	v_add_co_u32_e32 v5, vcc, v12, v5
	v_addc_co_u32_e32 v6, vcc, v13, v6, vcc
	v_mul_lo_u32 v7, s0, v6
	v_mul_hi_u32 v8, s0, v5
	v_add_u32_e32 v7, v8, v7
	v_mul_lo_u32 v8, s1, v5
	v_add_u32_e32 v7, v7, v8
	v_mul_lo_u32 v9, s0, v5
	v_mul_hi_u32 v10, v6, v9
	v_mul_lo_u32 v11, v6, v9
	v_mul_lo_u32 v18, v5, v7
	v_mul_hi_u32 v9, v5, v9
	v_mul_hi_u32 v17, v5, v7
	v_add_co_u32_e32 v9, vcc, v9, v18
	v_addc_co_u32_e32 v17, vcc, 0, v17, vcc
	v_add_co_u32_e32 v9, vcc, v9, v11
	v_mul_hi_u32 v8, v6, v7
	v_addc_co_u32_e32 v9, vcc, v17, v10, vcc
	v_addc_co_u32_e32 v8, vcc, 0, v8, vcc
	v_mul_lo_u32 v7, v6, v7
	v_add_co_u32_e32 v7, vcc, v9, v7
	v_addc_co_u32_e32 v8, vcc, 0, v8, vcc
	v_add_co_u32_e32 v5, vcc, v5, v7
	v_addc_co_u32_e32 v8, vcc, v6, v8, vcc
	v_mad_u64_u32 v[6:7], s[0:1], v0, v8, 0
	v_mul_hi_u32 v9, v0, v5
	v_add_co_u32_e32 v10, vcc, v9, v6
	v_addc_co_u32_e32 v11, vcc, 0, v7, vcc
	v_mad_u64_u32 v[6:7], s[0:1], v1, v8, 0
	v_mad_u64_u32 v[8:9], s[0:1], v1, v5, 0
	v_add_co_u32_e32 v5, vcc, v10, v8
	v_addc_co_u32_e32 v5, vcc, v11, v9, vcc
	v_addc_co_u32_e32 v7, vcc, 0, v7, vcc
	v_add_co_u32_e32 v5, vcc, v5, v6
	v_addc_co_u32_e32 v8, vcc, 0, v7, vcc
	v_mul_lo_u32 v9, s3, v5
	v_mul_lo_u32 v10, s2, v8
	v_mad_u64_u32 v[6:7], s[0:1], s2, v5, 0
	v_add3_u32 v7, v7, v10, v9
	v_sub_u32_e32 v9, v1, v7
	v_mov_b32_e32 v10, s3
	v_sub_co_u32_e32 v6, vcc, v0, v6
	v_subb_co_u32_e64 v9, s[0:1], v9, v10, vcc
	v_subrev_co_u32_e64 v10, s[0:1], s2, v6
	v_subbrev_co_u32_e64 v9, s[0:1], 0, v9, s[0:1]
	v_cmp_le_u32_e64 s[0:1], s3, v9
	v_cndmask_b32_e64 v11, 0, -1, s[0:1]
	v_cmp_le_u32_e64 s[0:1], s2, v10
	v_cndmask_b32_e64 v10, 0, -1, s[0:1]
	v_cmp_eq_u32_e64 s[0:1], s3, v9
	v_cndmask_b32_e64 v9, v11, v10, s[0:1]
	v_add_co_u32_e64 v10, s[0:1], 2, v5
	v_addc_co_u32_e64 v11, s[0:1], 0, v8, s[0:1]
	v_add_co_u32_e64 v17, s[0:1], 1, v5
	v_addc_co_u32_e64 v18, s[0:1], 0, v8, s[0:1]
	v_subb_co_u32_e32 v7, vcc, v1, v7, vcc
	v_cmp_ne_u32_e64 s[0:1], 0, v9
	v_cmp_le_u32_e32 vcc, s3, v7
	v_cndmask_b32_e64 v9, v18, v11, s[0:1]
	v_cndmask_b32_e64 v11, 0, -1, vcc
	v_cmp_le_u32_e32 vcc, s2, v6
	v_cndmask_b32_e64 v6, 0, -1, vcc
	v_cmp_eq_u32_e32 vcc, s3, v7
	v_cndmask_b32_e32 v6, v11, v6, vcc
	v_cmp_ne_u32_e32 vcc, 0, v6
	v_cndmask_b32_e64 v6, v17, v10, s[0:1]
	v_cndmask_b32_e32 v7, v8, v9, vcc
	v_cndmask_b32_e32 v6, v5, v6, vcc
.LBB0_5:                                ;   in Loop: Header=BB0_3 Depth=1
	s_andn2_saveexec_b64 s[0:1], s[12:13]
	s_cbranch_execz .LBB0_7
; %bb.6:                                ;   in Loop: Header=BB0_3 Depth=1
	s_sub_i32 s12, 0, s2
	v_mul_lo_u32 v5, s12, v14
	v_mul_hi_u32 v5, v14, v5
	v_add_u32_e32 v5, v14, v5
	v_mul_hi_u32 v5, v0, v5
	v_mul_lo_u32 v6, v5, s2
	v_sub_u32_e32 v6, v0, v6
	v_subrev_u32_e32 v7, s2, v6
	v_cmp_le_u32_e32 vcc, s2, v6
	v_cndmask_b32_e32 v6, v6, v7, vcc
	v_add_u32_e32 v7, 1, v5
	v_cndmask_b32_e32 v5, v5, v7, vcc
	v_add_u32_e32 v7, 1, v5
	v_cmp_le_u32_e32 vcc, s2, v6
	v_cndmask_b32_e32 v6, v5, v7, vcc
	v_mov_b32_e32 v7, v4
.LBB0_7:                                ;   in Loop: Header=BB0_3 Depth=1
	s_or_b64 exec, exec, s[0:1]
	v_mul_lo_u32 v5, v7, s2
	v_mul_lo_u32 v10, v6, s3
	v_mad_u64_u32 v[8:9], s[0:1], v6, s2, 0
	v_add3_u32 v5, v9, v10, v5
	v_sub_co_u32_e32 v8, vcc, v0, v8
	s_cmpk_lt_i32 s20, 0x7a
	v_subb_co_u32_e32 v9, vcc, v1, v5, vcc
	s_cbranch_scc1 .LBB0_10
; %bb.8:                                ;   in Loop: Header=BB0_3 Depth=1
	s_mov_b64 s[0:1], 0
	s_cmpk_eq_i32 s20, 0x7a
	s_mov_b64 s[12:13], 0
                                        ; implicit-def: $vgpr10_vgpr11
	s_cbranch_scc0 .LBB0_11
; %bb.9:                                ;   in Loop: Header=BB0_3 Depth=1
	v_lshlrev_b64 v[10:11], 3, v[8:9]
	v_mov_b32_e32 v5, s24
	v_sub_co_u32_e32 v17, vcc, s21, v10
	v_subb_co_u32_e32 v5, vcc, v5, v11, vcc
	v_cvt_f64_u32_e32 v[10:11], v5
	v_ldexp_f64 v[10:11], v[10:11], 32
	v_cvt_f64_u32_e32 v[18:19], v17
	v_add_f64 v[10:11], v[10:11], v[18:19]
	v_cmp_gt_f64_e32 vcc, s[10:11], v[10:11]
	v_cndmask_b32_e64 v5, 0, 1, vcc
	v_lshlrev_b32_e32 v5, 8, v5
	v_ldexp_f64 v[10:11], v[10:11], v5
	v_rsq_f64_e32 v[18:19], v[10:11]
	v_cndmask_b32_e32 v5, 0, v16, vcc
	v_cmp_class_f64_e32 vcc, v[10:11], v15
	v_mul_f64 v[20:21], v[10:11], v[18:19]
	v_mul_f64 v[18:19], v[18:19], 0.5
	v_fma_f64 v[22:23], -v[18:19], v[20:21], 0.5
	v_fmac_f64_e32 v[20:21], v[20:21], v[22:23]
	v_fma_f64 v[24:25], -v[20:21], v[20:21], v[10:11]
	v_fmac_f64_e32 v[18:19], v[18:19], v[22:23]
	v_fmac_f64_e32 v[20:21], v[24:25], v[18:19]
	v_fma_f64 v[22:23], -v[20:21], v[20:21], v[10:11]
	v_fmac_f64_e32 v[20:21], v[22:23], v[18:19]
	v_ldexp_f64 v[18:19], v[20:21], v5
	v_cndmask_b32_e32 v11, v19, v11, vcc
	v_cndmask_b32_e32 v10, v18, v10, vcc
	v_fma_f64 v[10:11], v[10:11], 0.5, -0.5
	v_floor_f64_e32 v[10:11], v[10:11]
	v_add_f64 v[10:11], v[2:3], -v[10:11]
	v_trunc_f64_e32 v[10:11], v[10:11]
	v_ldexp_f64 v[18:19], v[10:11], s27
	v_floor_f64_e32 v[18:19], v[18:19]
	v_fmac_f64_e32 v[10:11], 0xc1f00000, v[18:19]
	v_cvt_u32_f64_e32 v10, v[10:11]
	v_cvt_u32_f64_e32 v11, v[18:19]
	v_mov_b32_e32 v5, s5
	v_subrev_co_u32_e32 v18, vcc, s4, v8
	v_subb_co_u32_e32 v19, vcc, v9, v5, vcc
	v_mov_b32_e32 v5, s22
	v_sub_co_u32_e32 v17, vcc, s23, v10
	v_subb_co_u32_e32 v5, vcc, v5, v11, vcc
	v_add_co_u32_e32 v20, vcc, -1, v17
	v_addc_co_u32_e32 v21, vcc, -1, v5, vcc
	v_mul_lo_u32 v22, v21, v17
	v_mul_lo_u32 v5, v20, v5
	v_mad_u64_u32 v[20:21], s[12:13], v20, v17, 0
	v_add3_u32 v21, v21, v5, v22
	v_mul_lo_u32 v5, v7, s8
	v_mul_lo_u32 v17, v6, s9
	v_mad_u64_u32 v[22:23], s[12:13], v6, s8, 0
	v_add3_u32 v23, v23, v17, v5
	v_mul_lo_u32 v5, v10, s19
	v_mad_u64_u32 v[24:25], s[12:13], v10, s18, 0
	v_mul_lo_u32 v17, v11, s18
	v_lshlrev_b64 v[22:23], 2, v[22:23]
	v_add3_u32 v25, v25, v5, v17
	v_mov_b32_e32 v5, s15
	v_add_co_u32_e32 v17, vcc, s14, v22
	v_addc_co_u32_e32 v5, vcc, v5, v23, vcc
	v_lshlrev_b64 v[22:23], 2, v[24:25]
	v_add_co_u32_e32 v17, vcc, v17, v22
	v_addc_co_u32_e32 v5, vcc, v5, v23, vcc
	v_lshlrev_b64 v[18:19], 2, v[18:19]
	v_add_co_u32_e32 v17, vcc, v17, v18
	v_addc_co_u32_e32 v5, vcc, v5, v19, vcc
	v_lshlrev_b64 v[10:11], 2, v[10:11]
	v_add_co_u32_e32 v17, vcc, v17, v10
	v_addc_co_u32_e32 v5, vcc, v5, v11, vcc
	v_lshlrev_b64 v[10:11], 1, v[20:21]
	v_and_b32_e32 v10, -4, v10
	v_add_co_u32_e32 v10, vcc, v17, v10
	v_addc_co_u32_e32 v5, vcc, v5, v11, vcc
	v_add_co_u32_e32 v10, vcc, 4, v10
	v_addc_co_u32_e32 v11, vcc, 0, v5, vcc
	s_mov_b64 s[12:13], -1
	s_branch .LBB0_11
.LBB0_10:                               ;   in Loop: Header=BB0_3 Depth=1
	s_mov_b64 s[0:1], -1
	s_mov_b64 s[12:13], 0
                                        ; implicit-def: $vgpr10_vgpr11
.LBB0_11:                               ;   in Loop: Header=BB0_3 Depth=1
	s_and_b64 vcc, exec, s[0:1]
	s_cbranch_vccz .LBB0_14
; %bb.12:                               ;   in Loop: Header=BB0_3 Depth=1
	s_cmpk_eq_i32 s20, 0x79
                                        ; implicit-def: $vgpr10_vgpr11
	s_cbranch_scc0 .LBB0_14
; %bb.13:                               ;   in Loop: Header=BB0_3 Depth=1
	v_lshlrev_b64 v[10:11], 3, v[8:9]
	v_or_b32_e32 v5, 1, v10
	v_cvt_f64_u32_e32 v[10:11], v11
	v_ldexp_f64 v[10:11], v[10:11], 32
	v_cvt_f64_u32_e32 v[18:19], v5
	v_add_f64 v[10:11], v[10:11], v[18:19]
	v_cmp_gt_f64_e32 vcc, s[10:11], v[10:11]
	v_cndmask_b32_e64 v5, 0, 1, vcc
	v_lshlrev_b32_e32 v5, 8, v5
	v_ldexp_f64 v[10:11], v[10:11], v5
	v_rsq_f64_e32 v[18:19], v[10:11]
	v_cndmask_b32_e32 v5, 0, v16, vcc
	v_cmp_class_f64_e32 vcc, v[10:11], v15
	v_mul_lo_u32 v17, v6, s9
	v_mul_f64 v[20:21], v[10:11], v[18:19]
	v_mul_f64 v[18:19], v[18:19], 0.5
	v_fma_f64 v[22:23], -v[18:19], v[20:21], 0.5
	v_fmac_f64_e32 v[20:21], v[20:21], v[22:23]
	v_fma_f64 v[24:25], -v[20:21], v[20:21], v[10:11]
	v_fmac_f64_e32 v[18:19], v[18:19], v[22:23]
	v_fmac_f64_e32 v[20:21], v[24:25], v[18:19]
	v_fma_f64 v[22:23], -v[20:21], v[20:21], v[10:11]
	v_fmac_f64_e32 v[20:21], v[22:23], v[18:19]
	v_ldexp_f64 v[18:19], v[20:21], v5
	v_cndmask_b32_e32 v11, v19, v11, vcc
	v_cndmask_b32_e32 v10, v18, v10, vcc
	v_add_f64 v[10:11], v[10:11], -1.0
	v_mul_f64 v[10:11], v[10:11], 0.5
	v_trunc_f64_e32 v[10:11], v[10:11]
	v_ldexp_f64 v[18:19], v[10:11], s27
	v_floor_f64_e32 v[18:19], v[18:19]
	v_fmac_f64_e32 v[10:11], 0xc1f00000, v[18:19]
	v_cvt_u32_f64_e32 v10, v[10:11]
	v_cvt_u32_f64_e32 v11, v[18:19]
	v_mad_u64_u32 v[18:19], s[0:1], v10, v10, v[10:11]
	v_mul_lo_u32 v5, v10, v11
	v_add3_u32 v19, v5, v19, v5
	v_lshrrev_b64 v[18:19], 1, v[18:19]
	v_sub_co_u32_e32 v8, vcc, v8, v18
	v_mul_lo_u32 v5, v7, s8
	v_mad_u64_u32 v[6:7], s[0:1], v6, s8, 0
	v_subb_co_u32_e32 v9, vcc, v9, v19, vcc
	v_add3_u32 v7, v7, v17, v5
	v_pk_mov_b32 v[18:19], s[18:19], s[18:19] op_sel:[0,1]
	v_mul_lo_u32 v5, s19, v10
	v_mad_u64_u32 v[18:19], s[0:1], s18, v10, v[18:19]
	v_mul_lo_u32 v10, s18, v11
	v_lshlrev_b64 v[6:7], 2, v[6:7]
	v_add3_u32 v19, v5, v19, v10
	v_mov_b32_e32 v5, s15
	v_add_co_u32_e32 v10, vcc, s14, v6
	v_addc_co_u32_e32 v5, vcc, v5, v7, vcc
	v_lshlrev_b64 v[6:7], 2, v[18:19]
	v_add_co_u32_e32 v10, vcc, v10, v6
	v_addc_co_u32_e32 v5, vcc, v5, v7, vcc
	v_lshlrev_b64 v[6:7], 2, v[8:9]
	v_add_co_u32_e32 v10, vcc, v10, v6
	v_addc_co_u32_e32 v11, vcc, v5, v7, vcc
	s_mov_b64 s[12:13], -1
.LBB0_14:                               ;   in Loop: Header=BB0_3 Depth=1
	s_and_b64 vcc, exec, s[12:13]
	s_cbranch_vccz .LBB0_2
; %bb.15:                               ;   in Loop: Header=BB0_3 Depth=1
	global_store_dword v[10:11], v4, off
	s_branch .LBB0_2
.LBB0_16:
	s_endpgm
	.section	.rodata,"a",@progbits
	.p2align	6, 0x0
	.amdhsa_kernel _ZL18rocblas_trtri_fillILi128EfPfEvP15_rocblas_handle13rocblas_fill_ililT1_llii
		.amdhsa_group_segment_fixed_size 0
		.amdhsa_private_segment_fixed_size 0
		.amdhsa_kernarg_size 328
		.amdhsa_user_sgpr_count 6
		.amdhsa_user_sgpr_private_segment_buffer 1
		.amdhsa_user_sgpr_dispatch_ptr 0
		.amdhsa_user_sgpr_queue_ptr 0
		.amdhsa_user_sgpr_kernarg_segment_ptr 1
		.amdhsa_user_sgpr_dispatch_id 0
		.amdhsa_user_sgpr_flat_scratch_init 0
		.amdhsa_user_sgpr_kernarg_preload_length 0
		.amdhsa_user_sgpr_kernarg_preload_offset 0
		.amdhsa_user_sgpr_private_segment_size 0
		.amdhsa_uses_dynamic_stack 0
		.amdhsa_system_sgpr_private_segment_wavefront_offset 0
		.amdhsa_system_sgpr_workgroup_id_x 1
		.amdhsa_system_sgpr_workgroup_id_y 0
		.amdhsa_system_sgpr_workgroup_id_z 1
		.amdhsa_system_sgpr_workgroup_info 0
		.amdhsa_system_vgpr_workitem_id 0
		.amdhsa_next_free_vgpr 26
		.amdhsa_next_free_sgpr 28
		.amdhsa_accum_offset 28
		.amdhsa_reserve_vcc 1
		.amdhsa_reserve_flat_scratch 0
		.amdhsa_float_round_mode_32 0
		.amdhsa_float_round_mode_16_64 0
		.amdhsa_float_denorm_mode_32 3
		.amdhsa_float_denorm_mode_16_64 3
		.amdhsa_dx10_clamp 1
		.amdhsa_ieee_mode 1
		.amdhsa_fp16_overflow 0
		.amdhsa_tg_split 0
		.amdhsa_exception_fp_ieee_invalid_op 0
		.amdhsa_exception_fp_denorm_src 0
		.amdhsa_exception_fp_ieee_div_zero 0
		.amdhsa_exception_fp_ieee_overflow 0
		.amdhsa_exception_fp_ieee_underflow 0
		.amdhsa_exception_fp_ieee_inexact 0
		.amdhsa_exception_int_div_zero 0
	.end_amdhsa_kernel
	.section	.text._ZL18rocblas_trtri_fillILi128EfPfEvP15_rocblas_handle13rocblas_fill_ililT1_llii,"axG",@progbits,_ZL18rocblas_trtri_fillILi128EfPfEvP15_rocblas_handle13rocblas_fill_ililT1_llii,comdat
.Lfunc_end0:
	.size	_ZL18rocblas_trtri_fillILi128EfPfEvP15_rocblas_handle13rocblas_fill_ililT1_llii, .Lfunc_end0-_ZL18rocblas_trtri_fillILi128EfPfEvP15_rocblas_handle13rocblas_fill_ililT1_llii
                                        ; -- End function
	.section	.AMDGPU.csdata,"",@progbits
; Kernel info:
; codeLenInByte = 1948
; NumSgprs: 32
; NumVgprs: 26
; NumAgprs: 0
; TotalNumVgprs: 26
; ScratchSize: 0
; MemoryBound: 0
; FloatMode: 240
; IeeeMode: 1
; LDSByteSize: 0 bytes/workgroup (compile time only)
; SGPRBlocks: 3
; VGPRBlocks: 3
; NumSGPRsForWavesPerEU: 32
; NumVGPRsForWavesPerEU: 26
; AccumOffset: 28
; Occupancy: 8
; WaveLimiterHint : 0
; COMPUTE_PGM_RSRC2:SCRATCH_EN: 0
; COMPUTE_PGM_RSRC2:USER_SGPR: 6
; COMPUTE_PGM_RSRC2:TRAP_HANDLER: 0
; COMPUTE_PGM_RSRC2:TGID_X_EN: 1
; COMPUTE_PGM_RSRC2:TGID_Y_EN: 0
; COMPUTE_PGM_RSRC2:TGID_Z_EN: 1
; COMPUTE_PGM_RSRC2:TIDIG_COMP_CNT: 0
; COMPUTE_PGM_RSRC3_GFX90A:ACCUM_OFFSET: 6
; COMPUTE_PGM_RSRC3_GFX90A:TG_SPLIT: 0
	.section	.text._ZL26rocblas_trtri_small_kernelILi16EfPKfPfEv13rocblas_fill_17rocblas_diagonal_iT1_lillT2_lilli,"axG",@progbits,_ZL26rocblas_trtri_small_kernelILi16EfPKfPfEv13rocblas_fill_17rocblas_diagonal_iT1_lillT2_lilli,comdat
	.globl	_ZL26rocblas_trtri_small_kernelILi16EfPKfPfEv13rocblas_fill_17rocblas_diagonal_iT1_lillT2_lilli ; -- Begin function _ZL26rocblas_trtri_small_kernelILi16EfPKfPfEv13rocblas_fill_17rocblas_diagonal_iT1_lillT2_lilli
	.p2align	8
	.type	_ZL26rocblas_trtri_small_kernelILi16EfPKfPfEv13rocblas_fill_17rocblas_diagonal_iT1_lillT2_lilli,@function
_ZL26rocblas_trtri_small_kernelILi16EfPKfPfEv13rocblas_fill_17rocblas_diagonal_iT1_lillT2_lilli: ; @_ZL26rocblas_trtri_small_kernelILi16EfPKfPfEv13rocblas_fill_17rocblas_diagonal_iT1_lillT2_lilli
; %bb.0:
	s_load_dwordx4 s[16:19], s[4:5], 0x0
	s_waitcnt lgkmcnt(0)
	s_cmp_lt_i32 s18, 1
	s_cbranch_scc1 .LBB1_65
; %bb.1:
	s_load_dwordx8 s[8:15], s[4:5], 0x28
	v_cmp_le_u32_e64 s[2:3], s18, v0
	v_cmp_gt_u32_e64 s[0:1], s18, v0
	s_mov_b64 s[20:21], -1
	s_and_saveexec_b64 s[24:25], s[0:1]
	s_cbranch_execz .LBB1_24
; %bb.2:
	s_load_dwordx4 s[20:23], s[4:5], 0x10
	s_load_dword s26, s[4:5], 0x20
	s_waitcnt lgkmcnt(0)
	s_mul_i32 s9, s7, s9
	s_mul_hi_u32 s19, s7, s8
	s_add_i32 s9, s19, s9
	s_mul_i32 s8, s7, s8
	s_lshl_b64 s[28:29], s[8:9], 2
	s_add_u32 s8, s20, s28
	s_addc_u32 s9, s21, s29
	s_lshl_b64 s[22:23], s[22:23], 2
	s_add_u32 s19, s8, s22
	s_addc_u32 s27, s9, s23
	s_mul_i32 s8, s6, s11
	s_mul_hi_u32 s9, s6, s10
	s_add_i32 s9, s9, s8
	s_mul_i32 s8, s6, s10
	s_lshl_b64 s[10:11], s[8:9], 2
	s_add_u32 s19, s19, s10
	s_addc_u32 s33, s27, s11
	s_cmpk_lg_i32 s16, 0x7a
	s_cbranch_scc0 .LBB1_11
; %bb.3:
	s_add_i32 s8, s18, -1
	s_ashr_i32 s27, s26, 31
	v_min_i32_e32 v1, s8, v0
	v_sub_u32_e32 v1, s18, v1
	s_cmp_lg_u32 s18, 1
	v_cmp_gt_u32_e32 vcc, 2, v1
	s_cselect_b64 s[8:9], -1, 0
	s_or_b64 s[8:9], vcc, s[8:9]
	s_mov_b64 s[30:31], 0
	s_and_saveexec_b64 s[34:35], s[8:9]
	s_xor_b64 s[8:9], exec, s[34:35]
	s_cbranch_execz .LBB1_7
; %bb.4:
	s_lshl_b32 s34, s18, 2
	s_ashr_i32 s30, s18, 31
	s_add_u32 s35, s18, -1
	s_addc_u32 s30, s30, -1
	s_mul_i32 s31, s35, s27
	s_mul_hi_u32 s36, s35, s26
	s_add_i32 s31, s36, s31
	s_mul_i32 s30, s30, s26
	s_add_i32 s31, s31, s30
	s_mul_i32 s30, s35, s26
	s_lshl_b64 s[30:31], s[30:31], 2
	s_add_u32 s30, s30, s10
	s_addc_u32 s31, s31, s11
	s_add_u32 s30, s30, s28
	s_addc_u32 s31, s31, s29
	;; [unrolled: 2-line block ×4, first 2 shown]
	s_lshl_b64 s[36:37], s[26:27], 2
	v_lshlrev_b32_e32 v2, 2, v0
	s_sub_u32 s35, 0, s36
	v_sub_u32_e32 v1, s34, v2
	v_mov_b32_e32 v3, s31
	v_add_co_u32_e32 v2, vcc, s30, v2
	s_subb_u32 s36, 0, s37
	v_add_u32_e32 v1, -4, v1
	v_addc_co_u32_e32 v3, vcc, 0, v3, vcc
	s_mov_b64 s[30:31], 0
	v_mov_b32_e32 v4, s36
	s_mov_b32 s36, s18
.LBB1_5:                                ; =>This Inner Loop Header: Depth=1
	global_load_dword v5, v[2:3], off
	v_add_co_u32_e32 v2, vcc, s35, v2
	s_add_i32 s36, s36, -1
	v_addc_co_u32_e32 v3, vcc, v3, v4, vcc
	v_cmp_le_i32_e32 vcc, s36, v0
	s_or_b64 s[30:31], vcc, s[30:31]
	s_waitcnt vmcnt(0)
	ds_write_b32 v1, v5
	v_add_u32_e32 v1, s34, v1
	s_andn2_b64 exec, exec, s[30:31]
	s_cbranch_execnz .LBB1_5
; %bb.6:
	s_or_b64 exec, exec, s[30:31]
	s_mov_b64 s[30:31], exec
.LBB1_7:
	s_andn2_saveexec_b64 s[34:35], s[8:9]
	s_cbranch_execz .LBB1_10
; %bb.8:
	v_lshlrev_b32_e32 v3, 2, v0
	v_mov_b32_e32 v2, s33
	v_add_co_u32_e32 v1, vcc, s19, v3
	v_addc_co_u32_e32 v2, vcc, 0, v2, vcc
	s_mov_b32 s36, s26
	s_mov_b32 s37, s27
	;; [unrolled: 1-line block ×3, first 2 shown]
	v_sub_u32_e32 v3, 0, v3
	s_mov_b32 s39, -1
.LBB1_9:                                ; =>This Inner Loop Header: Depth=1
	s_ashr_i32 s9, s38, 31
	s_ashr_i32 s41, s39, 31
	s_mul_hi_u32 s42, s36, s39
	s_mul_hi_u32 s44, s26, s38
	s_mul_i32 s41, s36, s41
	s_mul_i32 s9, s26, s9
	;; [unrolled: 1-line block ×4, first 2 shown]
	s_add_i32 s41, s42, s41
	s_add_i32 s42, s44, s9
	s_mul_i32 s8, s36, s39
	s_mul_i32 s40, s26, s38
	s_add_i32 s9, s41, s43
	s_add_i32 s41, s42, s45
	s_lshl_b64 s[40:41], s[40:41], 2
	s_lshl_b64 s[8:9], s[8:9], 2
	v_mov_b32_e32 v5, s41
	v_mov_b32_e32 v8, s9
	v_add_co_u32_e32 v4, vcc, s8, v1
	v_add_co_u32_e64 v6, s[8:9], s40, v1
	v_addc_co_u32_e64 v7, s[8:9], v2, v5, s[8:9]
	v_addc_co_u32_e32 v5, vcc, v2, v8, vcc
	global_load_dword v8, v[6:7], off
	global_load_dword v9, v[4:5], off
	s_add_i32 s38, s38, -2
	s_add_i32 s39, s39, -2
	s_waitcnt vmcnt(0)
	ds_write2_b32 v3, v8, v9 offset1:1
	v_add_u32_e32 v3, 8, v3
	s_branch .LBB1_9
.LBB1_10:
	s_or_b64 exec, exec, s[34:35]
	s_branch .LBB1_23
.LBB1_11:
	s_mov_b64 s[30:31], 0
	s_cbranch_execz .LBB1_23
; %bb.12:
	v_mov_b32_e32 v4, 0
	v_add_u32_e32 v1, 1, v0
	v_cmp_gt_u32_e64 s[8:9], 3, v0
	v_cmp_lt_u32_e32 vcc, 2, v0
	s_and_saveexec_b64 s[30:31], vcc
	s_cbranch_execz .LBB1_19
; %bb.13:
	s_cmp_eq_u32 s26, 1
	s_cselect_b64 s[34:35], -1, 0
	s_cmp_eq_u32 s18, 1
	s_cselect_b64 s[36:37], -1, 0
	s_and_b64 s[34:35], s[34:35], s[36:37]
	s_and_b64 vcc, exec, s[34:35]
	s_cbranch_vccz .LBB1_17
; %bb.14:
	v_lshlrev_b32_e32 v5, 2, v0
	v_mov_b32_e32 v3, s33
	v_add_co_u32_e32 v2, vcc, s19, v5
	v_and_b32_e32 v4, 30, v1
	v_addc_co_u32_e32 v3, vcc, 0, v3, vcc
	s_mov_b64 s[34:35], 0
	v_mov_b32_e32 v6, v4
.LBB1_15:                               ; =>This Inner Loop Header: Depth=1
	global_load_dwordx2 v[8:9], v[2:3], off
	v_add_co_u32_e32 v2, vcc, 8, v2
	v_addc_co_u32_e32 v3, vcc, 0, v3, vcc
	v_add_u32_e32 v6, -2, v6
	v_cmp_eq_u32_e32 vcc, 0, v6
	s_or_b64 s[34:35], vcc, s[34:35]
	s_waitcnt vmcnt(0)
	ds_write2_b32 v5, v8, v9 offset1:1
	v_add_u32_e32 v5, 8, v5
	s_andn2_b64 exec, exec, s[34:35]
	s_cbranch_execnz .LBB1_15
; %bb.16:
	s_or_b64 exec, exec, s[34:35]
	v_cmp_ne_u32_e64 s[34:35], v1, v4
	s_branch .LBB1_18
.LBB1_17:
	s_mov_b64 s[34:35], -1
	v_mov_b32_e32 v4, 0
.LBB1_18:
	s_andn2_b64 s[8:9], s[8:9], exec
	s_and_b64 s[34:35], s[34:35], exec
	s_or_b64 s[8:9], s[8:9], s[34:35]
.LBB1_19:
	s_or_b64 exec, exec, s[30:31]
	s_and_saveexec_b64 s[30:31], s[8:9]
	s_cbranch_execz .LBB1_22
; %bb.20:
	s_ashr_i32 s27, s26, 31
	s_lshl_b32 s19, s18, 2
	v_mul_lo_u32 v2, v4, s18
	s_add_u32 s10, s10, s28
	v_add_lshl_u32 v5, v0, v2, 2
	s_addc_u32 s11, s11, s29
	v_mad_i64_i32 v[2:3], s[8:9], s26, v4, 0
	s_add_u32 s8, s22, s10
	v_lshlrev_b64 v[2:3], 2, v[2:3]
	s_addc_u32 s9, s23, s11
	v_sub_u32_e32 v1, v1, v4
	v_mov_b32_e32 v4, s9
	v_add_co_u32_e32 v2, vcc, s8, v2
	v_addc_co_u32_e32 v3, vcc, v4, v3, vcc
	v_lshlrev_b32_e32 v4, 2, v0
	v_add_co_u32_e32 v2, vcc, v2, v4
	v_addc_co_u32_e32 v3, vcc, 0, v3, vcc
	v_mov_b32_e32 v4, s21
	v_add_co_u32_e32 v2, vcc, s20, v2
	s_lshl_b64 s[8:9], s[26:27], 2
	v_addc_co_u32_e32 v3, vcc, v4, v3, vcc
	s_mov_b64 s[10:11], 0
	v_mov_b32_e32 v4, s9
.LBB1_21:                               ; =>This Inner Loop Header: Depth=1
	global_load_dword v6, v[2:3], off
	v_add_co_u32_e32 v2, vcc, s8, v2
	v_add_u32_e32 v1, -1, v1
	v_addc_co_u32_e32 v3, vcc, v3, v4, vcc
	v_cmp_eq_u32_e32 vcc, 0, v1
	s_or_b64 s[10:11], vcc, s[10:11]
	s_waitcnt vmcnt(0)
	ds_write_b32 v5, v6
	v_add_u32_e32 v5, s19, v5
	s_andn2_b64 exec, exec, s[10:11]
	s_cbranch_execnz .LBB1_21
.LBB1_22:
	s_or_b64 exec, exec, s[30:31]
	s_mov_b64 s[30:31], -1
.LBB1_23:
	s_orn2_b64 s[20:21], s[30:31], exec
.LBB1_24:
	s_or_b64 exec, exec, s[24:25]
	s_waitcnt lgkmcnt(0)
	s_and_saveexec_b64 s[8:9], s[20:21]
	s_cbranch_execz .LBB1_65
; %bb.25:
	s_waitcnt lgkmcnt(0)
	; wave barrier
	s_waitcnt lgkmcnt(0)
                                        ; implicit-def: $vgpr2
	s_and_saveexec_b64 s[8:9], s[2:3]
	s_xor_b64 s[2:3], exec, s[8:9]
; %bb.26:
	v_mad_u64_u32 v[2:3], s[8:9], v0, s18, v[0:1]
; %bb.27:
	s_andn2_saveexec_b64 s[2:3], s[2:3]
	s_cbranch_execz .LBB1_33
; %bb.28:
	v_mad_u64_u32 v[2:3], s[8:9], v0, s18, v[0:1]
	s_cmpk_eq_i32 s17, 0x84
	v_lshlrev_b32_e32 v1, 2, v2
	v_mov_b32_e32 v4, 1.0
	s_cbranch_scc1 .LBB1_32
; %bb.29:
	ds_read_b32 v3, v1
	v_mov_b32_e32 v4, 1.0
	s_waitcnt lgkmcnt(0)
	v_cmp_neq_f32_e32 vcc, 0, v3
	s_and_saveexec_b64 s[8:9], vcc
; %bb.30:
	v_div_scale_f32 v4, s[10:11], v3, v3, 1.0
	v_rcp_f32_e32 v5, v4
	v_div_scale_f32 v6, vcc, 1.0, v3, 1.0
	v_fma_f32 v7, -v4, v5, 1.0
	v_fmac_f32_e32 v5, v7, v5
	v_mul_f32_e32 v7, v6, v5
	v_fma_f32 v8, -v4, v7, v6
	v_fmac_f32_e32 v7, v8, v5
	v_fma_f32 v4, -v4, v7, v6
	v_div_fmas_f32 v4, v4, v5, v7
	v_div_fixup_f32 v4, v4, v3, 1.0
; %bb.31:
	s_or_b64 exec, exec, s[8:9]
.LBB1_32:
	ds_write_b32 v1, v4
.LBB1_33:
	s_or_b64 exec, exec, s[2:3]
	s_lshl_b32 s17, s18, 2
	v_lshlrev_b32_e32 v1, 2, v2
	s_mov_b32 s8, 4
	s_add_i32 s9, s17, 4
	v_add_lshl_u32 v2, v0, s18, 2
	s_mov_b32 s10, 0
	s_waitcnt lgkmcnt(0)
	; wave barrier
	s_waitcnt lgkmcnt(0)
	s_branch .LBB1_35
.LBB1_34:                               ;   in Loop: Header=BB1_35 Depth=1
	s_add_i32 s8, s8, s9
	s_cmp_eq_u32 s10, s18
	v_add_u32_e32 v2, s17, v2
	s_waitcnt lgkmcnt(0)
	; wave barrier
	s_cbranch_scc1 .LBB1_44
.LBB1_35:                               ; =>This Loop Header: Depth=1
                                        ;     Child Loop BB1_40 Depth 2
	s_mul_i32 s11, s10, s18
	v_cmp_lt_u32_e32 vcc, s10, v0
	v_add_lshl_u32 v3, s11, v0, 2
	v_mov_b32_e32 v4, 0
	s_and_saveexec_b64 s[2:3], vcc
	s_cbranch_execz .LBB1_37
; %bb.36:                               ;   in Loop: Header=BB1_35 Depth=1
	s_add_i32 s11, s11, s10
	s_lshl_b32 s11, s11, 2
	v_mov_b32_e32 v4, s11
	ds_read_b32 v5, v3
	ds_read_b32 v4, v4
	s_waitcnt lgkmcnt(0)
	v_fma_f32 v4, v5, v4, 0
.LBB1_37:                               ;   in Loop: Header=BB1_35 Depth=1
	s_or_b64 exec, exec, s[2:3]
	s_add_i32 s10, s10, 1
	s_cmp_ge_i32 s10, s18
	s_waitcnt lgkmcnt(0)
	; wave barrier
	s_cbranch_scc1 .LBB1_34
; %bb.38:                               ;   in Loop: Header=BB1_35 Depth=1
	v_mov_b32_e32 v5, v2
	s_mov_b32 s11, s8
	s_mov_b32 s19, s10
	s_branch .LBB1_40
.LBB1_39:                               ;   in Loop: Header=BB1_40 Depth=2
	s_or_b64 exec, exec, s[2:3]
	s_add_i32 s19, s19, 1
	s_add_i32 s11, s11, 4
	s_cmp_ge_i32 s19, s18
	v_add_u32_e32 v5, s17, v5
	s_waitcnt lgkmcnt(0)
	; wave barrier
	s_cbranch_scc1 .LBB1_34
.LBB1_40:                               ;   Parent Loop BB1_35 Depth=1
                                        ; =>  This Inner Loop Header: Depth=2
	v_cmp_eq_u32_e32 vcc, s19, v0
	s_and_saveexec_b64 s[2:3], vcc
	s_cbranch_execz .LBB1_42
; %bb.41:                               ;   in Loop: Header=BB1_40 Depth=2
	ds_read_b32 v6, v1
	s_waitcnt lgkmcnt(0)
	v_mul_f32_e64 v6, -v4, v6
	ds_write_b32 v3, v6
.LBB1_42:                               ;   in Loop: Header=BB1_40 Depth=2
	s_or_b64 exec, exec, s[2:3]
	v_cmp_lt_u32_e32 vcc, s19, v0
	s_waitcnt lgkmcnt(0)
	; wave barrier
	s_waitcnt lgkmcnt(0)
	s_and_saveexec_b64 s[2:3], vcc
	s_cbranch_execz .LBB1_39
; %bb.43:                               ;   in Loop: Header=BB1_40 Depth=2
	v_mov_b32_e32 v7, s11
	ds_read_b32 v6, v5
	ds_read_b32 v7, v7
	s_waitcnt lgkmcnt(0)
	v_fmac_f32_e32 v4, v6, v7
	s_branch .LBB1_39
.LBB1_44:
	s_and_b64 exec, exec, s[0:1]
	s_cbranch_execz .LBB1_65
; %bb.45:
	s_load_dwordx4 s[0:3], s[4:5], 0x50
	s_load_dword s8, s[4:5], 0x48
	s_waitcnt lgkmcnt(0)
	s_mul_i32 s1, s7, s1
	s_mul_hi_u32 s4, s7, s0
	s_mul_i32 s0, s7, s0
	s_add_i32 s1, s4, s1
	s_lshl_b64 s[10:11], s[0:1], 2
	s_add_u32 s0, s12, s10
	s_addc_u32 s1, s13, s11
	s_lshl_b64 s[4:5], s[14:15], 2
	s_add_u32 s9, s0, s4
	s_addc_u32 s14, s1, s5
	s_mul_i32 s0, s6, s3
	s_mul_hi_u32 s1, s6, s2
	s_add_i32 s1, s1, s0
	s_mul_i32 s0, s6, s2
	s_lshl_b64 s[6:7], s[0:1], 2
	s_add_u32 s19, s9, s6
	s_addc_u32 s20, s14, s7
	s_cmpk_lg_i32 s16, 0x7a
	s_mov_b64 s[0:1], -1
	s_cbranch_scc0 .LBB1_54
; %bb.46:
	s_add_i32 s2, s18, -1
	s_ashr_i32 s9, s8, 31
	v_min_i32_e32 v1, s2, v0
	v_sub_u32_e32 v1, s18, v1
	s_cmp_lg_u32 s18, 1
	v_cmp_gt_u32_e32 vcc, 2, v1
	s_cselect_b64 s[0:1], -1, 0
	s_or_b64 s[0:1], vcc, s[0:1]
	s_and_saveexec_b64 s[14:15], s[0:1]
	s_xor_b64 s[0:1], exec, s[14:15]
	s_cbranch_execz .LBB1_50
; %bb.47:
	s_add_u32 s14, s6, s10
	s_mul_i32 s3, s9, s2
	s_mul_hi_u32 s16, s8, s2
	s_addc_u32 s15, s7, s11
	s_add_i32 s3, s16, s3
	s_mul_i32 s2, s8, s2
	s_lshl_b64 s[2:3], s[2:3], 2
	s_add_u32 s2, s14, s2
	s_addc_u32 s3, s15, s3
	s_add_u32 s2, s2, s4
	s_addc_u32 s3, s3, s5
	;; [unrolled: 2-line block ×3, first 2 shown]
	s_lshl_b64 s[14:15], s[8:9], 2
	v_lshlrev_b32_e32 v1, 2, v0
	s_sub_u32 s14, 0, s14
	v_mov_b32_e32 v3, s3
	v_add_co_u32_e32 v2, vcc, s2, v1
	s_subb_u32 s15, 0, s15
	v_sub_u32_e32 v1, s17, v1
	v_addc_co_u32_e32 v3, vcc, 0, v3, vcc
	s_mov_b64 s[2:3], 0
	v_add_u32_e32 v1, -4, v1
	v_mov_b32_e32 v4, s15
	s_mov_b32 s15, s18
.LBB1_48:                               ; =>This Inner Loop Header: Depth=1
	ds_read_b32 v5, v1
	s_add_i32 s15, s15, -1
	v_cmp_le_i32_e32 vcc, s15, v0
	s_or_b64 s[2:3], vcc, s[2:3]
	v_add_u32_e32 v1, s17, v1
	s_waitcnt lgkmcnt(0)
	global_store_dword v[2:3], v5, off
	v_add_co_u32_e32 v2, vcc, s14, v2
	v_addc_co_u32_e32 v3, vcc, v3, v4, vcc
	s_andn2_b64 exec, exec, s[2:3]
	s_cbranch_execnz .LBB1_48
; %bb.49:
	s_or_b64 exec, exec, s[2:3]
.LBB1_50:
	s_andn2_saveexec_b64 s[14:15], s[0:1]
	s_cbranch_execz .LBB1_53
; %bb.51:
	v_lshlrev_b32_e32 v3, 2, v0
	v_mov_b32_e32 v2, s20
	v_add_co_u32_e32 v1, vcc, s19, v3
	v_addc_co_u32_e32 v2, vcc, 0, v2, vcc
	s_mov_b32 s16, s8
	s_mov_b32 s21, s9
	;; [unrolled: 1-line block ×3, first 2 shown]
	v_sub_u32_e32 v3, 0, v3
	s_mov_b32 s23, -1
	s_and_b64 vcc, exec, 0
.LBB1_52:                               ; =>This Inner Loop Header: Depth=1
	ds_read2_b32 v[4:5], v3 offset1:1
	s_mul_i32 s1, s21, s23
	s_mul_hi_u32 s3, s16, s23
	s_mul_i32 s24, s9, s22
	s_mul_hi_u32 s25, s8, s22
	s_mul_i32 s2, s8, s22
	s_add_i32 s1, s3, s1
	s_add_i32 s3, s25, s24
	s_mul_i32 s0, s16, s23
	s_lshl_b64 s[2:3], s[2:3], 2
	s_lshl_b64 s[0:1], s[0:1], 2
	v_mov_b32_e32 v7, s3
	v_add_co_u32_e64 v8, s[2:3], s2, v1
	s_add_i32 s22, s22, -2
	s_add_i32 s23, s23, -2
	v_add_u32_e32 v3, 8, v3
	v_mov_b32_e32 v10, s1
	v_add_co_u32_e64 v6, s[0:1], s0, v1
	v_addc_co_u32_e64 v9, s[2:3], v2, v7, s[2:3]
	v_addc_co_u32_e64 v7, s[0:1], v2, v10, s[0:1]
	s_waitcnt lgkmcnt(0)
	global_store_dword v[8:9], v4, off
	global_store_dword v[6:7], v5, off
	s_mov_b64 vcc, vcc
	s_cbranch_vccz .LBB1_52
.LBB1_53:
	s_or_b64 exec, exec, s[14:15]
	s_mov_b64 s[0:1], 0
.LBB1_54:
	s_andn2_b64 vcc, exec, s[0:1]
	s_cbranch_vccnz .LBB1_65
; %bb.55:
	v_mov_b32_e32 v1, 0
	v_add_u32_e32 v4, 1, v0
	v_cmp_gt_u32_e64 s[0:1], 3, v0
	v_cmp_lt_u32_e32 vcc, 2, v0
	s_and_saveexec_b64 s[2:3], vcc
	s_cbranch_execz .LBB1_62
; %bb.56:
	s_cmp_eq_u32 s18, 1
	s_cselect_b64 s[14:15], -1, 0
	s_cmp_eq_u32 s8, 1
	s_cselect_b64 s[22:23], -1, 0
	s_and_b64 s[14:15], s[14:15], s[22:23]
	s_and_b64 vcc, exec, s[14:15]
	s_cbranch_vccz .LBB1_60
; %bb.57:
	v_lshlrev_b32_e32 v5, 2, v0
	v_mov_b32_e32 v1, s20
	v_add_co_u32_e32 v2, vcc, s19, v5
	v_addc_co_u32_e32 v3, vcc, 0, v1, vcc
	v_and_b32_e32 v1, 30, v4
	s_mov_b64 s[14:15], 0
	v_mov_b32_e32 v6, v1
.LBB1_58:                               ; =>This Inner Loop Header: Depth=1
	ds_read2_b32 v[8:9], v5 offset1:1
	v_add_u32_e32 v6, -2, v6
	v_cmp_eq_u32_e32 vcc, 0, v6
	s_or_b64 s[14:15], vcc, s[14:15]
	v_add_u32_e32 v5, 8, v5
	s_waitcnt lgkmcnt(0)
	global_store_dwordx2 v[2:3], v[8:9], off
	v_add_co_u32_e32 v2, vcc, 8, v2
	v_addc_co_u32_e32 v3, vcc, 0, v3, vcc
	s_andn2_b64 exec, exec, s[14:15]
	s_cbranch_execnz .LBB1_58
; %bb.59:
	s_or_b64 exec, exec, s[14:15]
	v_cmp_ne_u32_e64 s[14:15], v4, v1
	s_branch .LBB1_61
.LBB1_60:
	s_mov_b64 s[14:15], -1
	v_mov_b32_e32 v1, 0
.LBB1_61:
	s_andn2_b64 s[0:1], s[0:1], exec
	s_and_b64 s[14:15], s[14:15], exec
	s_or_b64 s[0:1], s[0:1], s[14:15]
.LBB1_62:
	s_or_b64 exec, exec, s[2:3]
	s_and_b64 exec, exec, s[0:1]
	s_cbranch_execz .LBB1_65
; %bb.63:
	s_ashr_i32 s9, s8, 31
	s_add_u32 s2, s6, s10
	s_addc_u32 s3, s7, s11
	v_mad_i64_i32 v[2:3], s[0:1], s8, v1, 0
	s_add_u32 s0, s4, s2
	v_lshlrev_b64 v[2:3], 2, v[2:3]
	s_addc_u32 s1, s5, s3
	v_mov_b32_e32 v5, s1
	v_add_co_u32_e32 v2, vcc, s0, v2
	v_addc_co_u32_e32 v3, vcc, v5, v3, vcc
	v_lshlrev_b32_e32 v5, 2, v0
	v_add_co_u32_e32 v2, vcc, v2, v5
	v_addc_co_u32_e32 v3, vcc, 0, v3, vcc
	v_sub_u32_e32 v4, v4, v1
	v_mov_b32_e32 v5, s13
	v_add_co_u32_e32 v2, vcc, s12, v2
	s_lshl_b64 s[0:1], s[8:9], 2
	v_mul_lo_u32 v1, v1, s18
	v_addc_co_u32_e32 v3, vcc, v5, v3, vcc
	v_add_lshl_u32 v0, v0, v1, 2
	s_mov_b64 s[2:3], 0
	v_mov_b32_e32 v1, s1
.LBB1_64:                               ; =>This Inner Loop Header: Depth=1
	ds_read_b32 v5, v0
	v_add_u32_e32 v4, -1, v4
	v_cmp_eq_u32_e32 vcc, 0, v4
	s_or_b64 s[2:3], vcc, s[2:3]
	v_add_u32_e32 v0, s17, v0
	s_waitcnt lgkmcnt(0)
	global_store_dword v[2:3], v5, off
	v_add_co_u32_e32 v2, vcc, s0, v2
	v_addc_co_u32_e32 v3, vcc, v3, v1, vcc
	s_andn2_b64 exec, exec, s[2:3]
	s_cbranch_execnz .LBB1_64
.LBB1_65:
	s_endpgm
	.section	.rodata,"a",@progbits
	.p2align	6, 0x0
	.amdhsa_kernel _ZL26rocblas_trtri_small_kernelILi16EfPKfPfEv13rocblas_fill_17rocblas_diagonal_iT1_lillT2_lilli
		.amdhsa_group_segment_fixed_size 1024
		.amdhsa_private_segment_fixed_size 0
		.amdhsa_kernarg_size 100
		.amdhsa_user_sgpr_count 6
		.amdhsa_user_sgpr_private_segment_buffer 1
		.amdhsa_user_sgpr_dispatch_ptr 0
		.amdhsa_user_sgpr_queue_ptr 0
		.amdhsa_user_sgpr_kernarg_segment_ptr 1
		.amdhsa_user_sgpr_dispatch_id 0
		.amdhsa_user_sgpr_flat_scratch_init 0
		.amdhsa_user_sgpr_kernarg_preload_length 0
		.amdhsa_user_sgpr_kernarg_preload_offset 0
		.amdhsa_user_sgpr_private_segment_size 0
		.amdhsa_uses_dynamic_stack 0
		.amdhsa_system_sgpr_private_segment_wavefront_offset 0
		.amdhsa_system_sgpr_workgroup_id_x 1
		.amdhsa_system_sgpr_workgroup_id_y 0
		.amdhsa_system_sgpr_workgroup_id_z 1
		.amdhsa_system_sgpr_workgroup_info 0
		.amdhsa_system_vgpr_workitem_id 0
		.amdhsa_next_free_vgpr 11
		.amdhsa_next_free_sgpr 46
		.amdhsa_accum_offset 12
		.amdhsa_reserve_vcc 1
		.amdhsa_reserve_flat_scratch 0
		.amdhsa_float_round_mode_32 0
		.amdhsa_float_round_mode_16_64 0
		.amdhsa_float_denorm_mode_32 3
		.amdhsa_float_denorm_mode_16_64 3
		.amdhsa_dx10_clamp 1
		.amdhsa_ieee_mode 1
		.amdhsa_fp16_overflow 0
		.amdhsa_tg_split 0
		.amdhsa_exception_fp_ieee_invalid_op 0
		.amdhsa_exception_fp_denorm_src 0
		.amdhsa_exception_fp_ieee_div_zero 0
		.amdhsa_exception_fp_ieee_overflow 0
		.amdhsa_exception_fp_ieee_underflow 0
		.amdhsa_exception_fp_ieee_inexact 0
		.amdhsa_exception_int_div_zero 0
	.end_amdhsa_kernel
	.section	.text._ZL26rocblas_trtri_small_kernelILi16EfPKfPfEv13rocblas_fill_17rocblas_diagonal_iT1_lillT2_lilli,"axG",@progbits,_ZL26rocblas_trtri_small_kernelILi16EfPKfPfEv13rocblas_fill_17rocblas_diagonal_iT1_lillT2_lilli,comdat
.Lfunc_end1:
	.size	_ZL26rocblas_trtri_small_kernelILi16EfPKfPfEv13rocblas_fill_17rocblas_diagonal_iT1_lillT2_lilli, .Lfunc_end1-_ZL26rocblas_trtri_small_kernelILi16EfPKfPfEv13rocblas_fill_17rocblas_diagonal_iT1_lillT2_lilli
                                        ; -- End function
	.section	.AMDGPU.csdata,"",@progbits
; Kernel info:
; codeLenInByte = 2256
; NumSgprs: 50
; NumVgprs: 11
; NumAgprs: 0
; TotalNumVgprs: 11
; ScratchSize: 0
; MemoryBound: 0
; FloatMode: 240
; IeeeMode: 1
; LDSByteSize: 1024 bytes/workgroup (compile time only)
; SGPRBlocks: 6
; VGPRBlocks: 1
; NumSGPRsForWavesPerEU: 50
; NumVGPRsForWavesPerEU: 11
; AccumOffset: 12
; Occupancy: 8
; WaveLimiterHint : 0
; COMPUTE_PGM_RSRC2:SCRATCH_EN: 0
; COMPUTE_PGM_RSRC2:USER_SGPR: 6
; COMPUTE_PGM_RSRC2:TRAP_HANDLER: 0
; COMPUTE_PGM_RSRC2:TGID_X_EN: 1
; COMPUTE_PGM_RSRC2:TGID_Y_EN: 0
; COMPUTE_PGM_RSRC2:TGID_Z_EN: 1
; COMPUTE_PGM_RSRC2:TIDIG_COMP_CNT: 0
; COMPUTE_PGM_RSRC3_GFX90A:ACCUM_OFFSET: 2
; COMPUTE_PGM_RSRC3_GFX90A:TG_SPLIT: 0
	.section	.text._ZL29rocblas_trtri_diagonal_kernelILi16EfPKfPfEv13rocblas_fill_17rocblas_diagonal_iT1_lillT2_lilli,"axG",@progbits,_ZL29rocblas_trtri_diagonal_kernelILi16EfPKfPfEv13rocblas_fill_17rocblas_diagonal_iT1_lillT2_lilli,comdat
	.globl	_ZL29rocblas_trtri_diagonal_kernelILi16EfPKfPfEv13rocblas_fill_17rocblas_diagonal_iT1_lillT2_lilli ; -- Begin function _ZL29rocblas_trtri_diagonal_kernelILi16EfPKfPfEv13rocblas_fill_17rocblas_diagonal_iT1_lillT2_lilli
	.p2align	8
	.type	_ZL29rocblas_trtri_diagonal_kernelILi16EfPKfPfEv13rocblas_fill_17rocblas_diagonal_iT1_lillT2_lilli,@function
_ZL29rocblas_trtri_diagonal_kernelILi16EfPKfPfEv13rocblas_fill_17rocblas_diagonal_iT1_lillT2_lilli: ; @_ZL29rocblas_trtri_diagonal_kernelILi16EfPKfPfEv13rocblas_fill_17rocblas_diagonal_iT1_lillT2_lilli
; %bb.0:
	s_load_dwordx4 s[20:23], s[4:5], 0x0
	s_waitcnt lgkmcnt(0)
	s_ashr_i32 s0, s22, 31
	s_lshr_b32 s0, s0, 27
	s_add_i32 s0, s22, s0
	s_ashr_i32 s0, s0, 5
	v_cvt_f32_u32_e32 v1, s0
	s_sub_i32 s1, 0, s0
	v_rcp_iflag_f32_e32 v1, v1
	v_mul_f32_e32 v1, 0x4f7ffffe, v1
	v_cvt_u32_f32_e32 v1, v1
	v_readfirstlane_b32 s2, v1
	s_mul_i32 s1, s1, s2
	s_mul_hi_u32 s1, s2, s1
	s_add_i32 s2, s2, s1
	s_mul_hi_u32 s1, s6, s2
	s_mul_i32 s2, s1, s0
	s_sub_i32 s2, s6, s2
	s_add_i32 s3, s1, 1
	s_sub_i32 s8, s2, s0
	s_cmp_ge_u32 s2, s0
	s_cselect_b32 s1, s3, s1
	s_cselect_b32 s2, s8, s2
	s_add_i32 s3, s1, 1
	s_cmp_ge_u32 s2, s0
	s_cselect_b32 s42, s3, s1
	s_mul_i32 s0, s42, s0
	s_sub_i32 s6, s6, s0
	s_lshl_b32 s0, s6, 4
	s_cmp_eq_u32 s22, s0
	s_cbranch_scc1 .LBB2_126
; %bb.1:
	s_sub_i32 s34, s22, s0
	s_min_u32 s33, s34, 16
	s_lshl_b32 s14, s33, 1
	v_cmp_gt_u32_e64 s[8:9], s33, v0
	v_cmp_le_u32_e64 s[0:1], s33, v0
	v_cmp_gt_u32_e64 s[2:3], s14, v0
	v_cmp_le_u32_e32 vcc, s14, v0
	v_mov_b32_e32 v2, v0
	s_and_saveexec_b64 s[10:11], s[0:1]
	s_cbranch_execz .LBB2_7
; %bb.2:
                                        ; implicit-def: $vgpr2
	s_and_saveexec_b64 s[12:13], vcc
	s_xor_b64 s[12:13], exec, s[12:13]
; %bb.3:
	v_subrev_u32_e32 v2, s14, v0
; %bb.4:
	s_andn2_saveexec_b64 s[12:13], s[12:13]
; %bb.5:
	v_subrev_u32_e32 v2, s33, v0
; %bb.6:
	s_or_b64 exec, exec, s[12:13]
.LBB2_7:
	s_or_b64 exec, exec, s[10:11]
	s_load_dwordx4 s[24:27], s[4:5], 0x10
	s_load_dword s10, s[4:5], 0x20
	s_load_dwordx8 s[12:19], s[4:5], 0x28
	v_mov_b32_e32 v1, 0xc00
	v_cndmask_b32_e64 v1, 0, v1, s[2:3]
	v_mov_b32_e32 v3, 0x800
	v_cndmask_b32_e64 v12, v1, v3, s[8:9]
	s_waitcnt lgkmcnt(0)
	s_ashr_i32 s11, s10, 31
	s_mul_i32 s8, s7, s13
	s_mul_hi_u32 s9, s7, s12
	s_add_i32 s13, s9, s8
	s_lshl_b64 s[8:9], s[10:11], 5
	s_add_u32 s8, s8, 32
	s_addc_u32 s9, s9, 0
	s_mul_i32 s9, s9, s6
	s_mul_hi_u32 s22, s8, s6
	s_add_i32 s23, s22, s9
	s_mul_i32 s22, s8, s6
	s_mul_i32 s8, s42, s15
	s_mul_hi_u32 s9, s42, s14
	s_mul_i32 s12, s7, s12
	s_add_i32 s15, s9, s8
	s_mul_i32 s14, s42, s14
	s_and_saveexec_b64 s[8:9], vcc
	s_xor_b64 s[28:29], exec, s[8:9]
	s_cbranch_execz .LBB2_30
; %bb.8:
	s_mul_i32 s8, s33, 3
	v_cmp_gt_u32_e32 vcc, s8, v0
	s_and_saveexec_b64 s[30:31], vcc
	s_cbranch_execz .LBB2_29
; %bb.9:
	s_cmpk_eq_i32 s20, 0x7a
	s_mov_b64 s[8:9], -1
	s_cbranch_scc1 .LBB2_18
; %bb.10:
	v_ashrrev_i32_e32 v3, 31, v2
	s_cmp_gt_u32 s33, 1
	v_lshlrev_b64 v[4:5], 2, v[2:3]
	s_mov_b32 s36, s33
	s_cbranch_scc0 .LBB2_14
; %bb.11:
	s_lshl_b64 s[8:9], s[12:13], 2
	s_add_u32 s35, s24, s8
	s_addc_u32 s36, s25, s9
	s_lshl_b64 s[8:9], s[26:27], 2
	s_add_u32 s35, s35, s8
	s_addc_u32 s36, s36, s9
	;; [unrolled: 3-line block ×4, first 2 shown]
	s_mul_hi_i32 s9, s33, s10
	s_mul_i32 s8, s33, s10
	s_lshl_b64 s[8:9], s[8:9], 2
	s_add_u32 s8, s35, s8
	s_addc_u32 s9, s36, s9
	v_mov_b32_e32 v3, s9
	v_add_co_u32_e32 v1, vcc, s8, v4
	s_and_b32 s35, s33, 30
	v_addc_co_u32_e32 v3, vcc, v3, v5, vcc
	v_lshl_add_u32 v6, v2, 2, v12
	s_mov_b32 s36, s33
	s_add_i32 s37, s33, -1
	s_mov_b32 s38, s33
	s_mov_b32 s39, s10
	;; [unrolled: 1-line block ×4, first 2 shown]
.LBB2_12:                               ; =>This Inner Loop Header: Depth=1
	s_add_i32 s43, s38, -1
	s_add_i32 s46, s37, -1
	s_mul_i32 s9, s40, s46
	s_mul_hi_u32 s45, s39, s46
	s_mul_i32 s47, s11, s43
	s_mul_hi_u32 s48, s10, s43
	s_mul_i32 s8, s39, s46
	s_mul_i32 s44, s10, s43
	s_add_i32 s9, s45, s9
	s_add_i32 s45, s48, s47
	s_lshl_b64 s[44:45], s[44:45], 2
	s_lshl_b64 s[8:9], s[8:9], 2
	v_mov_b32_e32 v7, s45
	v_mov_b32_e32 v9, s9
	v_add_co_u32_e32 v8, vcc, s8, v1
	v_add_co_u32_e64 v10, s[8:9], s44, v1
	v_addc_co_u32_e64 v11, s[8:9], v3, v7, s[8:9]
	v_addc_co_u32_e32 v9, vcc, v3, v9, vcc
	global_load_dword v7, v[10:11], off
	global_load_dword v13, v[8:9], off
	s_add_i32 s37, s37, -2
	s_add_i32 s38, s38, -2
	;; [unrolled: 1-line block ×3, first 2 shown]
	s_mul_i32 s43, s43, s33
	s_mul_i32 s46, s46, s36
	v_lshl_add_u32 v8, s43, 2, v6
	s_cmp_lg_u32 s41, 0
	v_lshl_add_u32 v9, s46, 2, v6
	s_waitcnt vmcnt(1)
	ds_write_b32 v8, v7
	s_waitcnt vmcnt(0)
	ds_write_b32 v9, v13
	s_cbranch_scc1 .LBB2_12
; %bb.13:
	s_sub_i32 s36, s33, s35
	s_cmp_lg_u32 s33, s35
	s_cselect_b64 s[8:9], -1, 0
.LBB2_14:
	s_and_b64 vcc, exec, s[8:9]
	s_cbranch_vccz .LBB2_17
; %bb.15:
	s_add_i32 s8, s36, 1
	s_add_i32 s36, s36, -1
	s_mul_i32 s9, s33, s36
	s_lshl_b32 s9, s9, 2
	v_lshlrev_b32_e32 v1, 2, v2
	s_lshl_b32 s35, s33, 2
	v_add3_u32 v1, s9, v1, v12
	s_sub_i32 s9, 0, s35
	s_lshl_b64 s[38:39], s[14:15], 2
	s_lshl_b64 s[40:41], s[12:13], 2
	s_add_u32 s40, s38, s40
	s_addc_u32 s41, s39, s41
	s_lshl_b64 s[38:39], s[22:23], 2
	s_mov_b32 s37, 0
	s_add_u32 s38, s40, s38
	s_addc_u32 s39, s41, s39
	s_lshl_b64 s[36:37], s[36:37], 2
	s_add_u32 s35, s35, s36
	s_addc_u32 s36, 0, s37
	s_mul_i32 s37, s35, s11
	s_mul_hi_u32 s40, s35, s10
	s_add_i32 s37, s40, s37
	s_mul_i32 s36, s36, s10
	s_add_i32 s37, s37, s36
	s_mul_i32 s35, s35, s10
	s_add_u32 s35, s38, s35
	s_addc_u32 s38, s39, s37
	s_lshl_b64 s[36:37], s[26:27], 2
	s_add_u32 s35, s35, s36
	s_addc_u32 s36, s38, s37
	s_add_u32 s35, s24, s35
	s_addc_u32 s36, s25, s36
	v_mov_b32_e32 v3, s36
	s_lshl_b64 s[36:37], s[10:11], 2
	v_add_co_u32_e32 v4, vcc, s35, v4
	s_sub_u32 s35, 0, s36
	s_subb_u32 s36, 0, s37
	v_addc_co_u32_e32 v5, vcc, v3, v5, vcc
	v_mov_b32_e32 v3, s36
.LBB2_16:                               ; =>This Inner Loop Header: Depth=1
	global_load_dword v6, v[4:5], off
	s_add_i32 s8, s8, -1
	v_add_co_u32_e32 v4, vcc, s35, v4
	v_addc_co_u32_e32 v5, vcc, v5, v3, vcc
	s_cmp_gt_u32 s8, 1
	s_waitcnt vmcnt(0)
	ds_write_b32 v1, v6
	v_add_u32_e32 v1, s9, v1
	s_cbranch_scc1 .LBB2_16
.LBB2_17:
	s_mov_b64 s[8:9], 0
.LBB2_18:
	s_andn2_b64 vcc, exec, s[8:9]
	s_cbranch_vccnz .LBB2_29
; %bb.19:
	s_cmp_gt_u32 s34, 1
	s_cselect_b64 s[8:9], -1, 0
	s_cmp_eq_u32 s10, 1
	v_add_u32_e32 v6, s33, v2
	s_cselect_b64 s[34:35], -1, 0
	v_ashrrev_i32_e32 v7, 31, v6
	s_and_b64 s[8:9], s[8:9], s[34:35]
	s_and_b64 vcc, exec, s[8:9]
	v_lshlrev_b64 v[4:5], 2, v[6:7]
	s_cbranch_vccnz .LBB2_21
; %bb.20:
	s_lshl_b64 s[8:9], s[14:15], 2
	s_lshl_b64 s[34:35], s[12:13], 2
	s_add_u32 s8, s8, s34
	s_addc_u32 s9, s9, s35
	s_lshl_b64 s[34:35], s[22:23], 2
	s_lshl_b64 s[36:37], s[26:27], 2
	v_lshlrev_b64 v[6:7], 2, v[6:7]
	s_mov_b64 s[40:41], 0
	s_mov_b64 s[38:39], -1
	s_mov_b32 s43, 0
	s_branch .LBB2_22
.LBB2_21:
	s_mov_b64 s[40:41], -1
	s_mov_b64 s[38:39], 0
                                        ; implicit-def: $sgpr43
                                        ; implicit-def: $sgpr8_sgpr9
                                        ; implicit-def: $sgpr34_sgpr35
                                        ; implicit-def: $sgpr36_sgpr37
                                        ; implicit-def: $vgpr6_vgpr7
.LBB2_22:
	s_andn2_b64 vcc, exec, s[40:41]
	s_mov_b32 s40, 1
	s_cbranch_vccnz .LBB2_26
; %bb.23:
	s_and_b32 s43, s33, 30
	s_lshl_b64 s[8:9], s[14:15], 2
	s_lshl_b64 s[34:35], s[12:13], 2
	s_add_u32 s8, s8, s34
	s_addc_u32 s9, s9, s35
	s_lshl_b64 s[34:35], s[22:23], 2
	s_add_u32 s39, s8, s34
	s_addc_u32 s41, s9, s35
	s_lshl_b64 s[36:37], s[26:27], 2
	s_add_u32 s39, s39, s36
	s_addc_u32 s41, s41, s37
	s_add_u32 s39, s24, s39
	s_addc_u32 s41, s25, s41
	v_mov_b32_e32 v3, s41
	v_add_co_u32_e32 v6, vcc, s39, v4
	v_lshl_add_u32 v1, v2, 2, v12
	s_mov_b32 s38, s33
	v_addc_co_u32_e32 v7, vcc, v3, v5, vcc
	s_mov_b32 s39, 0
	s_mov_b32 s41, s43
.LBB2_24:                               ; =>This Inner Loop Header: Depth=1
	global_load_dwordx2 v[8:9], v[6:7], off
	s_mul_i32 s44, s40, s38
	s_mul_i32 s45, s39, s33
	s_add_i32 s39, s39, 2
	s_add_i32 s40, s40, 2
	v_add_co_u32_e32 v6, vcc, 8, v6
	s_add_i32 s41, s41, -2
	v_addc_co_u32_e32 v7, vcc, 0, v7, vcc
	v_lshl_add_u32 v3, s45, 2, v1
	s_cmp_lg_u32 s41, 0
	v_lshl_add_u32 v10, s44, 2, v1
	s_waitcnt vmcnt(0)
	ds_write_b32 v3, v8
	ds_write_b32 v10, v9
	s_cbranch_scc1 .LBB2_24
; %bb.25:
	s_cmp_lg_u32 s33, s43
	s_cselect_b64 s[38:39], -1, 0
	v_pk_mov_b32 v[6:7], v[4:5], v[4:5] op_sel:[0,1]
.LBB2_26:
	s_and_b64 vcc, exec, s[38:39]
	s_cbranch_vccz .LBB2_29
; %bb.27:
	s_mul_i32 s39, s43, s33
	s_mul_i32 s40, s11, s43
	s_mul_hi_u32 s41, s10, s43
	s_lshl_b32 s39, s39, 2
	v_lshlrev_b32_e32 v1, 2, v2
	s_add_i32 s41, s41, s40
	s_mul_i32 s40, s10, s43
	s_sub_i32 s38, s33, s43
	v_add3_u32 v1, s39, v1, v12
	s_lshl_b32 s39, s33, 2
	s_lshl_b64 s[40:41], s[40:41], 2
	s_add_u32 s8, s8, s40
	s_addc_u32 s9, s9, s41
	s_add_u32 s8, s8, s34
	s_addc_u32 s9, s9, s35
	;; [unrolled: 2-line block ×4, first 2 shown]
	v_mov_b32_e32 v3, s9
	v_add_co_u32_e32 v4, vcc, s8, v6
	s_lshl_b64 s[8:9], s[10:11], 2
	v_addc_co_u32_e32 v5, vcc, v3, v7, vcc
	v_mov_b32_e32 v3, s9
.LBB2_28:                               ; =>This Inner Loop Header: Depth=1
	global_load_dword v6, v[4:5], off
	s_add_i32 s38, s38, -1
	v_add_co_u32_e32 v4, vcc, s8, v4
	v_addc_co_u32_e32 v5, vcc, v5, v3, vcc
	s_cmp_eq_u32 s38, 0
	s_waitcnt vmcnt(0)
	ds_write_b32 v1, v6
	v_add_u32_e32 v1, s39, v1
	s_cbranch_scc0 .LBB2_28
.LBB2_29:
	s_or_b64 exec, exec, s[30:31]
.LBB2_30:
	s_andn2_saveexec_b64 s[8:9], s[28:29]
	s_cbranch_execz .LBB2_44
; %bb.31:
	v_pk_mov_b32 v[4:5], 0, 0
	s_and_saveexec_b64 s[28:29], s[0:1]
; %bb.32:
	s_add_u32 s30, s10, 1
	s_addc_u32 s31, s11, 0
	s_mul_i32 s31, s31, s33
	s_mul_hi_u32 s34, s30, s33
	s_add_i32 s31, s34, s31
	s_mul_i32 s30, s30, s33
	v_pk_mov_b32 v[4:5], s[30:31], s[30:31] op_sel:[0,1]
; %bb.33:
	s_or_b64 exec, exec, s[28:29]
	s_mov_b64 s[28:29], -1
	s_cmpk_lg_i32 s20, 0x7a
	v_lshlrev_b64 v[4:5], 2, v[4:5]
	s_cbranch_scc0 .LBB2_39
; %bb.34:
	s_add_i32 s30, s33, -1
	s_lshl_b32 s31, s33, 2
	s_lshl_b64 s[28:29], s[14:15], 2
	s_lshl_b64 s[34:35], s[12:13], 2
	s_add_u32 s34, s28, s34
	s_addc_u32 s35, s29, s35
	s_lshl_b64 s[28:29], s[22:23], 2
	s_add_u32 s34, s34, s28
	s_addc_u32 s35, s35, s29
	s_mul_i32 s28, s11, s30
	s_mul_hi_u32 s29, s10, s30
	s_add_i32 s29, s29, s28
	s_mul_i32 s28, s10, s30
	s_lshl_b64 s[28:29], s[28:29], 2
	s_add_u32 s34, s34, s28
	s_addc_u32 s35, s35, s29
	s_lshl_b64 s[28:29], s[26:27], 2
	s_add_u32 s28, s28, s34
	s_addc_u32 s29, s29, s35
	v_ashrrev_i32_e32 v3, 31, v2
	v_mov_b32_e32 v6, s29
	v_add_co_u32_e32 v8, vcc, s28, v4
	v_addc_co_u32_e32 v9, vcc, v6, v5, vcc
	v_lshlrev_b64 v[6:7], 2, v[2:3]
	v_add_co_u32_e32 v3, vcc, v8, v6
	s_lshl_b64 s[28:29], s[10:11], 2
	v_addc_co_u32_e32 v7, vcc, v9, v7, vcc
	s_sub_u32 s34, 0, s28
	v_sub_u32_e32 v1, s30, v2
	v_mov_b32_e32 v8, s25
	v_add_co_u32_e32 v6, vcc, s24, v3
	s_subb_u32 s28, 0, s29
	v_lshl_add_u32 v1, v1, 2, v12
	v_addc_co_u32_e32 v7, vcc, v8, v7, vcc
	v_mov_b32_e32 v3, s28
	s_branch .LBB2_36
.LBB2_35:                               ;   in Loop: Header=BB2_36 Depth=1
	s_or_b64 exec, exec, s[28:29]
	s_add_i32 s30, s30, -1
	v_add_co_u32_e32 v6, vcc, s34, v6
	s_waitcnt vmcnt(0)
	ds_write_b32 v1, v8
	v_add_u32_e32 v1, s31, v1
	s_cmp_eq_u32 s30, -1
	v_addc_co_u32_e32 v7, vcc, v7, v3, vcc
	s_cbranch_scc1 .LBB2_38
.LBB2_36:                               ; =>This Inner Loop Header: Depth=1
	v_cmp_ge_i32_e32 vcc, s30, v2
	v_mov_b32_e32 v8, 0
	s_and_saveexec_b64 s[28:29], vcc
	s_cbranch_execz .LBB2_35
; %bb.37:                               ;   in Loop: Header=BB2_36 Depth=1
	global_load_dword v8, v[6:7], off
	s_branch .LBB2_35
.LBB2_38:
	s_mov_b64 s[28:29], 0
.LBB2_39:
	s_and_b64 vcc, exec, s[28:29]
	s_cbranch_vccz .LBB2_44
; %bb.40:
	s_lshl_b32 s28, s33, 2
	s_lshl_b64 s[14:15], s[14:15], 2
	s_lshl_b64 s[12:13], s[12:13], 2
	s_add_u32 s14, s14, s12
	s_addc_u32 s15, s15, s13
	s_lshl_b64 s[12:13], s[22:23], 2
	s_add_u32 s14, s14, s12
	s_addc_u32 s15, s15, s13
	;; [unrolled: 3-line block ×3, first 2 shown]
	v_ashrrev_i32_e32 v3, 31, v2
	v_mov_b32_e32 v6, s13
	v_add_co_u32_e32 v7, vcc, s12, v4
	v_addc_co_u32_e32 v6, vcc, v6, v5, vcc
	v_lshlrev_b64 v[4:5], 2, v[2:3]
	v_add_co_u32_e32 v3, vcc, v7, v4
	v_addc_co_u32_e32 v5, vcc, v6, v5, vcc
	v_mov_b32_e32 v6, s25
	v_add_co_u32_e32 v4, vcc, s24, v3
	s_lshl_b64 s[10:11], s[10:11], 2
	v_lshl_add_u32 v1, v2, 2, v12
	v_addc_co_u32_e32 v5, vcc, v6, v5, vcc
	s_mov_b32 s14, 0
	v_mov_b32_e32 v3, s11
	s_branch .LBB2_42
.LBB2_41:                               ;   in Loop: Header=BB2_42 Depth=1
	s_or_b64 exec, exec, s[12:13]
	s_add_i32 s14, s14, 1
	v_add_co_u32_e32 v4, vcc, s10, v4
	s_waitcnt vmcnt(0)
	ds_write_b32 v1, v6
	v_add_u32_e32 v1, s28, v1
	s_cmp_eq_u32 s33, s14
	v_addc_co_u32_e32 v5, vcc, v5, v3, vcc
	s_cbranch_scc1 .LBB2_44
.LBB2_42:                               ; =>This Inner Loop Header: Depth=1
	v_cmp_le_i32_e32 vcc, s14, v2
	v_mov_b32_e32 v6, 0
	s_and_saveexec_b64 s[12:13], vcc
	s_cbranch_execz .LBB2_41
; %bb.43:                               ;   in Loop: Header=BB2_42 Depth=1
	global_load_dword v6, v[4:5], off
	s_branch .LBB2_41
.LBB2_44:
	s_or_b64 exec, exec, s[8:9]
	s_waitcnt lgkmcnt(0)
	s_barrier
	s_and_saveexec_b64 s[8:9], s[2:3]
	s_cbranch_execz .LBB2_50
; %bb.45:
	s_add_i32 s10, s33, 1
	v_mul_i32_i24_e32 v1, s10, v2
	s_cmpk_eq_i32 s21, 0x84
	v_lshl_add_u32 v1, v1, 2, v12
	v_mov_b32_e32 v4, 1.0
	s_cbranch_scc1 .LBB2_49
; %bb.46:
	ds_read_b32 v3, v1
	v_mov_b32_e32 v4, 1.0
	s_waitcnt lgkmcnt(0)
	v_cmp_neq_f32_e32 vcc, 0, v3
	s_and_saveexec_b64 s[10:11], vcc
; %bb.47:
	v_div_scale_f32 v4, s[12:13], v3, v3, 1.0
	v_rcp_f32_e32 v5, v4
	v_div_scale_f32 v6, vcc, 1.0, v3, 1.0
	v_fma_f32 v7, -v4, v5, 1.0
	v_fmac_f32_e32 v5, v7, v5
	v_mul_f32_e32 v7, v6, v5
	v_fma_f32 v8, -v4, v7, v6
	v_fmac_f32_e32 v7, v8, v5
	v_fma_f32 v4, -v4, v7, v6
	v_div_fmas_f32 v4, v4, v5, v7
	v_div_fixup_f32 v4, v4, v3, 1.0
; %bb.48:
	s_or_b64 exec, exec, s[10:11]
.LBB2_49:
	ds_write_b32 v1, v4
.LBB2_50:
	s_or_b64 exec, exec, s[8:9]
	s_waitcnt lgkmcnt(0)
	s_barrier
	s_and_saveexec_b64 s[8:9], s[2:3]
	s_cbranch_execz .LBB2_62
; %bb.51:
	s_add_i32 s10, s33, 1
	v_lshlrev_b32_e32 v5, 2, v2
	v_mul_i32_i24_e32 v3, s10, v2
	s_lshl_b32 s12, s33, 2
	v_add_u32_e32 v1, v12, v5
	v_lshl_add_u32 v3, v3, 2, v12
	v_add_u32_e32 v4, 4, v12
	s_add_i32 s13, s12, 4
	v_add3_u32 v5, v5, s12, v12
	s_mov_b32 s14, 0
	s_branch .LBB2_53
.LBB2_52:                               ;   in Loop: Header=BB2_53 Depth=1
	v_add_u32_e32 v4, s13, v4
	s_cmp_eq_u32 s14, s33
	v_add_u32_e32 v5, s12, v5
	s_cbranch_scc1 .LBB2_62
.LBB2_53:                               ; =>This Loop Header: Depth=1
                                        ;     Child Loop BB2_58 Depth 2
	v_cmp_lt_i32_e32 vcc, s14, v2
	s_mul_i32 s15, s14, s33
	v_mov_b32_e32 v6, 0
	s_and_saveexec_b64 s[10:11], vcc
	s_cbranch_execz .LBB2_55
; %bb.54:                               ;   in Loop: Header=BB2_53 Depth=1
	s_lshl_b32 s21, s14, 2
	s_lshl_b32 s22, s15, 2
	s_add_i32 s21, s22, s21
	v_add_u32_e32 v6, s21, v12
	v_add_u32_e32 v7, s22, v1
	ds_read_b32 v7, v7
	ds_read_b32 v6, v6
	s_waitcnt lgkmcnt(0)
	v_fma_f32 v6, v7, v6, 0
.LBB2_55:                               ;   in Loop: Header=BB2_53 Depth=1
	s_or_b64 exec, exec, s[10:11]
	s_add_i32 s14, s14, 1
	s_cmp_ge_u32 s14, s33
	s_cbranch_scc1 .LBB2_52
; %bb.56:                               ;   in Loop: Header=BB2_53 Depth=1
	v_lshl_add_u32 v7, s15, 2, v1
	v_mov_b32_e32 v8, v5
	v_mov_b32_e32 v9, v4
	s_mov_b32 s15, s14
	s_branch .LBB2_58
.LBB2_57:                               ;   in Loop: Header=BB2_58 Depth=2
	s_or_b64 exec, exec, s[10:11]
	s_add_i32 s15, s15, 1
	v_add_u32_e32 v9, 4, v9
	s_cmp_ge_u32 s15, s33
	v_add_u32_e32 v8, s12, v8
	s_cbranch_scc1 .LBB2_52
.LBB2_58:                               ;   Parent Loop BB2_53 Depth=1
                                        ; =>  This Inner Loop Header: Depth=2
	v_cmp_eq_u32_e32 vcc, s15, v2
	s_and_saveexec_b64 s[10:11], vcc
	s_cbranch_execz .LBB2_60
; %bb.59:                               ;   in Loop: Header=BB2_58 Depth=2
	ds_read_b32 v10, v3
	s_waitcnt lgkmcnt(0)
	v_mul_f32_e64 v10, -v6, v10
	ds_write_b32 v7, v10
.LBB2_60:                               ;   in Loop: Header=BB2_58 Depth=2
	s_or_b64 exec, exec, s[10:11]
	v_cmp_lt_i32_e32 vcc, s15, v2
	s_and_saveexec_b64 s[10:11], vcc
	s_cbranch_execz .LBB2_57
; %bb.61:                               ;   in Loop: Header=BB2_58 Depth=2
	ds_read_b32 v10, v8
	ds_read_b32 v11, v9
	s_waitcnt lgkmcnt(0)
	v_fmac_f32_e32 v6, v10, v11
	s_branch .LBB2_57
.LBB2_62:
	s_or_b64 exec, exec, s[8:9]
	s_and_b32 s8, s33, 0xffff
	v_cvt_f32_u32_e32 v1, s8
	v_cvt_f32_ubyte0_e32 v3, v0
	s_cmpk_lg_i32 s20, 0x7a
	s_cselect_b64 s[14:15], -1, 0
	v_rcp_iflag_f32_e32 v4, v1
	s_mul_i32 s8, s33, s33
	v_cmp_gt_u32_e64 s[8:9], s8, v0
	s_waitcnt lgkmcnt(0)
	v_mul_f32_e32 v4, v3, v4
	v_trunc_f32_e32 v4, v4
	v_cvt_u32_f32_e32 v5, v4
	v_mad_f32 v3, -v4, v1, v3
	v_cmp_ge_f32_e64 vcc, |v3|, v1
	s_barrier
	v_addc_co_u32_e32 v1, vcc, 0, v5, vcc
	v_and_b32_e32 v3, 0xffff, v1
	v_mul_lo_u16_e32 v1, s33, v1
	v_sub_u16_e32 v1, v0, v1
	s_and_b64 vcc, exec, s[14:15]
	s_cbranch_vccz .LBB2_74
; %bb.63:
	s_mov_b64 s[10:11], 0
	s_mov_b64 s[20:21], 0
                                        ; implicit-def: $vgpr0
                                        ; implicit-def: $vgpr4
	s_and_saveexec_b64 s[12:13], s[8:9]
	s_cbranch_execz .LBB2_73
; %bb.64:
	v_add_u32_e32 v6, 1, v3
	v_cmp_lt_u16_e32 vcc, 6, v3
	v_mov_b32_e32 v0, 0
	v_mov_b32_e32 v4, 0
	v_lshlrev_b32_e32 v5, 6, v3
	s_and_saveexec_b64 s[20:21], vcc
	s_cbranch_execz .LBB2_68
; %bb.65:
	v_and_b32_e32 v4, 0x7f8, v6
	v_lshlrev_b32_e32 v7, 2, v1
	v_sub_u32_e32 v8, 0xfe0, v5
	s_mov_b32 s24, 0
	s_mov_b64 s[22:23], 0
	v_mov_b32_e32 v0, 0
.LBB2_66:                               ; =>This Inner Loop Header: Depth=1
	ds_read2_b32 v[10:11], v7 offset1:16
	ds_read_b128 v[14:17], v8
	ds_read_b128 v[18:21], v8 offset:16
	ds_read2_b32 v[22:23], v7 offset0:32 offset1:48
	ds_read2_b32 v[24:25], v7 offset0:64 offset1:80
	;; [unrolled: 1-line block ×3, first 2 shown]
	s_add_i32 s24, s24, 8
	s_waitcnt lgkmcnt(3)
	v_fmac_f32_e32 v0, v10, v21
	v_fmac_f32_e32 v0, v11, v20
	s_waitcnt lgkmcnt(2)
	v_fmac_f32_e32 v0, v22, v19
	v_fmac_f32_e32 v0, v23, v18
	;; [unrolled: 3-line block ×3, first 2 shown]
	v_cmp_eq_u32_e32 vcc, s24, v4
	s_waitcnt lgkmcnt(0)
	v_fmac_f32_e32 v0, v26, v15
	v_add_u32_e32 v7, 0x200, v7
	v_subrev_u32_e32 v8, 32, v8
	s_or_b64 s[22:23], vcc, s[22:23]
	v_fmac_f32_e32 v0, v27, v14
	s_andn2_b64 exec, exec, s[22:23]
	s_cbranch_execnz .LBB2_66
; %bb.67:
	s_or_b64 exec, exec, s[22:23]
.LBB2_68:
	s_or_b64 exec, exec, s[20:21]
	v_and_b32_e32 v6, 7, v6
	v_cmp_ne_u32_e32 vcc, 0, v6
	s_and_saveexec_b64 s[20:21], vcc
	s_cbranch_execz .LBB2_72
; %bb.69:
	v_lshl_add_u32 v5, v4, 2, v5
	v_lshlrev_b32_e32 v7, 2, v1
	v_sub_u32_e32 v5, 0xffc, v5
	v_lshl_add_u32 v4, v4, 6, v7
	s_mov_b64 s[22:23], 0
.LBB2_70:                               ; =>This Inner Loop Header: Depth=1
	ds_read_b32 v7, v4
	ds_read_b32 v8, v5
	v_add_u32_e32 v6, -1, v6
	v_cmp_eq_u32_e32 vcc, 0, v6
	v_add_u32_e32 v5, -4, v5
	v_add_u32_e32 v4, 64, v4
	s_or_b64 s[22:23], vcc, s[22:23]
	s_waitcnt lgkmcnt(0)
	v_fmac_f32_e32 v0, v7, v8
	s_andn2_b64 exec, exec, s[22:23]
	s_cbranch_execnz .LBB2_70
; %bb.71:
	s_or_b64 exec, exec, s[22:23]
.LBB2_72:
	s_or_b64 exec, exec, s[20:21]
	s_mov_b64 s[20:21], exec
	v_lshlrev_b32_e32 v4, 4, v3
.LBB2_73:
	s_or_b64 exec, exec, s[12:13]
	s_and_b64 vcc, exec, s[10:11]
	s_cbranch_vccnz .LBB2_75
	s_branch .LBB2_82
.LBB2_74:
	s_mov_b64 s[20:21], 0
                                        ; implicit-def: $vgpr0
                                        ; implicit-def: $vgpr4
	s_cbranch_execz .LBB2_82
.LBB2_75:
                                        ; implicit-def: $vgpr0
                                        ; implicit-def: $vgpr4
	s_and_saveexec_b64 s[10:11], s[8:9]
	s_cbranch_execz .LBB2_81
; %bb.76:
	v_cmp_gt_u16_e32 vcc, 16, v3
	v_mov_b32_e32 v0, 0
	s_and_saveexec_b64 s[12:13], vcc
	s_cbranch_execz .LBB2_80
; %bb.77:
	v_lshlrev_b32_e32 v0, 2, v1
	v_lshl_add_u32 v4, v3, 6, v0
	s_movk_i32 s22, 0x44
	v_mov_b32_e32 v0, 0x800
	v_add_u32_e32 v5, -1, v3
	v_mad_u32_u24 v6, v3, s22, v0
	s_mov_b64 s[22:23], 0
	v_mov_b32_e32 v0, 0
.LBB2_78:                               ; =>This Inner Loop Header: Depth=1
	ds_read_b32 v7, v4
	ds_read_b32 v8, v6
	v_add_u32_e32 v5, 1, v5
	v_cmp_lt_u32_e32 vcc, 14, v5
	v_add_u32_e32 v4, 64, v4
	v_add_u32_e32 v6, 4, v6
	s_or_b64 s[22:23], vcc, s[22:23]
	s_waitcnt lgkmcnt(0)
	v_fmac_f32_e32 v0, v7, v8
	s_andn2_b64 exec, exec, s[22:23]
	s_cbranch_execnz .LBB2_78
; %bb.79:
	s_or_b64 exec, exec, s[22:23]
.LBB2_80:
	s_or_b64 exec, exec, s[12:13]
	v_lshlrev_b32_e32 v4, 4, v3
	s_or_b64 s[20:21], s[20:21], exec
.LBB2_81:
	s_or_b64 exec, exec, s[10:11]
.LBB2_82:
	s_and_saveexec_b64 s[10:11], s[20:21]
	s_cbranch_execz .LBB2_84
; %bb.83:
	v_add_lshl_u32 v4, v4, v1, 2
	ds_write_b32 v4, v0 offset:1024
.LBB2_84:
	s_or_b64 exec, exec, s[10:11]
	s_load_dword s10, s[4:5], 0x48
	s_load_dwordx4 s[24:27], s[4:5], 0x50
	s_waitcnt lgkmcnt(0)
	s_barrier
	s_ashr_i32 s11, s10, 31
	s_mul_i32 s5, s7, s25
	s_mul_hi_u32 s12, s7, s24
	s_mul_i32 s4, s7, s24
	s_add_i32 s5, s12, s5
	s_lshl_b64 s[12:13], s[4:5], 2
	s_add_u32 s7, s16, s12
	s_addc_u32 s20, s17, s13
	s_lshl_b64 s[4:5], s[18:19], 2
	s_add_u32 s24, s7, s4
	s_addc_u32 s25, s20, s5
	;; [unrolled: 3-line block ×3, first 2 shown]
	s_mul_i32 s20, s20, s6
	s_mul_hi_u32 s21, s7, s6
	s_add_i32 s23, s21, s20
	s_mul_i32 s22, s7, s6
	s_lshl_b64 s[6:7], s[22:23], 2
	s_add_u32 s24, s24, s6
	s_mul_i32 s20, s42, s27
	s_mul_hi_u32 s21, s42, s26
	s_addc_u32 s25, s25, s7
	s_add_i32 s21, s21, s20
	s_mul_i32 s20, s42, s26
	s_lshl_b64 s[20:21], s[20:21], 2
	s_add_u32 s28, s24, s20
	s_addc_u32 s29, s25, s21
	s_mov_b64 s[24:25], -1
	s_and_b64 vcc, exec, s[14:15]
	s_cbranch_vccnz .LBB2_87
; %bb.85:
	s_andn2_b64 vcc, exec, s[24:25]
	s_cbranch_vccz .LBB2_92
.LBB2_86:
	s_and_saveexec_b64 s[8:9], s[2:3]
	s_cbranch_execnz .LBB2_103
	s_branch .LBB2_126
.LBB2_87:
	s_and_saveexec_b64 s[24:25], s[8:9]
	s_cbranch_execz .LBB2_91
; %bb.88:
	v_mad_u32_u24 v0, s33, v3, v1
	v_mov_b32_e32 v4, 0x400
	v_lshl_add_u32 v6, v0, 2, v4
	v_sub_u32_e32 v0, s33, v1
	v_mul_i32_i24_e32 v0, s33, v0
	v_lshlrev_b32_e32 v0, 2, v0
	v_lshlrev_b32_e32 v4, 2, v1
	v_sub_u32_e32 v0, v0, v4
	s_lshl_b32 s26, s33, 2
	v_add_u32_e32 v5, -1, v1
	v_add_u32_e32 v7, 0x7fc, v0
	s_sub_i32 s30, 0, s26
	s_mov_b64 s[26:27], 0
	v_mov_b32_e32 v0, 0
.LBB2_89:                               ; =>This Inner Loop Header: Depth=1
	ds_read_b32 v8, v7
	ds_read_b32 v9, v6
	v_add_u32_e32 v5, 1, v5
	v_cmp_lt_u32_e32 vcc, 14, v5
	v_add_u32_e32 v6, 4, v6
	v_add_u32_e32 v7, s30, v7
	s_or_b64 s[26:27], vcc, s[26:27]
	s_waitcnt lgkmcnt(0)
	v_fma_f32 v0, -v8, v9, v0
	s_andn2_b64 exec, exec, s[26:27]
	s_cbranch_execnz .LBB2_89
; %bb.90:
	s_or_b64 exec, exec, s[26:27]
	s_mul_hi_i32 s27, s33, s10
	s_mul_i32 s26, s33, s10
	s_lshl_b64 s[26:27], s[26:27], 2
	s_add_u32 s26, s28, s26
	s_addc_u32 s27, s29, s27
	v_mad_i64_i32 v[6:7], s[30:31], v3, s10, 0
	v_mov_b32_e32 v5, s27
	v_add_co_u32_e32 v8, vcc, s26, v4
	v_addc_co_u32_e32 v9, vcc, 0, v5, vcc
	v_lshlrev_b64 v[4:5], 2, v[6:7]
	v_add_co_u32_e32 v4, vcc, v8, v4
	v_addc_co_u32_e32 v5, vcc, v9, v5, vcc
	global_store_dword v[4:5], v0, off
.LBB2_91:
	s_or_b64 exec, exec, s[24:25]
	s_cbranch_execnz .LBB2_86
.LBB2_92:
	s_and_saveexec_b64 s[24:25], s[8:9]
	s_cbranch_execz .LBB2_102
; %bb.93:
	v_mul_u32_u24_e32 v13, s33, v3
	v_add_u32_e32 v15, 1, v1
	v_cmp_lt_u16_e32 vcc, 6, v1
	v_mov_b32_e32 v5, 0
	v_mov_b32_e32 v14, 0
	s_and_saveexec_b64 s[8:9], vcc
	s_cbranch_execz .LBB2_97
; %bb.94:
	v_mov_b32_e32 v0, 0x400
	v_lshl_add_u32 v16, v13, 2, v0
	v_mov_b32_e32 v0, 0xc00
	v_lshl_add_u32 v0, v1, 2, v0
	v_mad_u64_u32 v[4:5], s[26:27], s33, 12, v[0:1]
	v_mad_u64_u32 v[6:7], s[26:27], s33, 20, v[0:1]
	;; [unrolled: 1-line block ×4, first 2 shown]
	v_and_b32_e32 v14, 56, v15
	v_lshl_add_u32 v17, s33, 2, v0
	s_lshl_b32 s30, s33, 5
	v_lshl_add_u32 v18, s33, 3, v0
	v_lshl_add_u32 v19, s33, 4, v0
	s_mov_b32 s31, 0
	s_mov_b64 s[26:27], 0
	v_mov_b32_e32 v5, 0
.LBB2_95:                               ; =>This Inner Loop Header: Depth=1
	ds_read_b32 v7, v17
	ds_read_b32 v9, v18
	;; [unrolled: 1-line block ×6, first 2 shown]
	ds_read2_b32 v[20:21], v16 offset1:1
	ds_read2_b32 v[22:23], v16 offset0:2 offset1:3
	ds_read2_b32 v[24:25], v16 offset0:4 offset1:5
	;; [unrolled: 1-line block ×3, first 2 shown]
	ds_read_b32 v31, v0
	ds_read_b32 v32, v10
	s_add_i32 s31, s31, 8
	v_cmp_eq_u32_e32 vcc, s31, v14
	v_add_u32_e32 v16, 32, v16
	s_waitcnt lgkmcnt(1)
	v_fma_f32 v5, -v31, v20, v5
	v_fma_f32 v5, -v7, v21, v5
	;; [unrolled: 1-line block ×7, first 2 shown]
	v_add_u32_e32 v17, s30, v17
	v_add_u32_e32 v18, s30, v18
	;; [unrolled: 1-line block ×8, first 2 shown]
	s_or_b64 s[26:27], vcc, s[26:27]
	s_waitcnt lgkmcnt(0)
	v_fma_f32 v5, -v32, v27, v5
	s_andn2_b64 exec, exec, s[26:27]
	s_cbranch_execnz .LBB2_95
; %bb.96:
	s_or_b64 exec, exec, s[26:27]
.LBB2_97:
	s_or_b64 exec, exec, s[8:9]
	v_and_b32_e32 v0, 7, v15
	v_cmp_ne_u32_e32 vcc, 0, v0
	s_and_saveexec_b64 s[8:9], vcc
	s_cbranch_execz .LBB2_101
; %bb.98:
	v_add_u32_e32 v4, v13, v14
	v_mov_b32_e32 v6, 0x400
	v_lshl_add_u32 v4, v4, 2, v6
	v_mad_u32_u24 v6, v14, s33, v1
	v_mov_b32_e32 v7, 0xc00
	v_lshl_add_u32 v6, v6, 2, v7
	s_lshl_b32 s30, s33, 2
	s_mov_b64 s[26:27], 0
.LBB2_99:                               ; =>This Inner Loop Header: Depth=1
	ds_read_b32 v7, v6
	ds_read_b32 v8, v4
	v_add_u32_e32 v0, -1, v0
	v_cmp_eq_u32_e32 vcc, 0, v0
	v_add_u32_e32 v4, 4, v4
	v_add_u32_e32 v6, s30, v6
	s_or_b64 s[26:27], vcc, s[26:27]
	s_waitcnt lgkmcnt(0)
	v_fma_f32 v5, -v7, v8, v5
	s_andn2_b64 exec, exec, s[26:27]
	s_cbranch_execnz .LBB2_99
; %bb.100:
	s_or_b64 exec, exec, s[26:27]
.LBB2_101:
	s_or_b64 exec, exec, s[8:9]
	v_mad_i64_i32 v[6:7], s[8:9], v3, s10, 0
	v_lshlrev_b64 v[6:7], 2, v[6:7]
	v_mov_b32_e32 v0, s29
	v_add_co_u32_e32 v3, vcc, s28, v6
	v_addc_co_u32_e32 v4, vcc, v0, v7, vcc
	v_add_lshl_u32 v0, s33, v1, 2
	v_add_co_u32_e32 v0, vcc, v3, v0
	v_addc_co_u32_e32 v1, vcc, 0, v4, vcc
	global_store_dword v[0:1], v5, off
.LBB2_102:
	s_or_b64 exec, exec, s[24:25]
	s_and_saveexec_b64 s[8:9], s[2:3]
	s_cbranch_execz .LBB2_126
.LBB2_103:
	v_pk_mov_b32 v[0:1], 0, 0
	s_and_saveexec_b64 s[2:3], s[0:1]
	s_cbranch_execnz .LBB2_106
; %bb.104:
	s_or_b64 exec, exec, s[2:3]
	s_mov_b64 s[0:1], -1
	s_and_b64 vcc, exec, s[14:15]
	s_cbranch_vccnz .LBB2_107
.LBB2_105:
	s_andn2_b64 vcc, exec, s[0:1]
	s_cbranch_vccz .LBB2_116
	s_branch .LBB2_126
.LBB2_106:
	s_add_u32 s0, s10, 1
	s_addc_u32 s1, s11, 0
	s_mul_i32 s1, s1, s33
	s_mul_hi_u32 s8, s0, s33
	s_add_i32 s1, s8, s1
	s_mul_i32 s0, s0, s33
	v_pk_mov_b32 v[0:1], s[0:1], s[0:1] op_sel:[0,1]
	s_or_b64 exec, exec, s[2:3]
	s_mov_b64 s[0:1], -1
	s_and_b64 vcc, exec, s[14:15]
	s_cbranch_vccz .LBB2_105
.LBB2_107:
	v_cmp_gt_i32_e32 vcc, s33, v2
	s_and_saveexec_b64 s[2:3], vcc
	s_cbranch_execz .LBB2_115
; %bb.108:
	s_add_i32 s24, s33, -1
	v_ashrrev_i32_e32 v3, 31, v2
	v_sub_u32_e32 v6, s33, v2
	v_cmp_lt_u32_e32 vcc, 1, v6
	v_mov_b32_e32 v8, s24
	v_lshlrev_b64 v[4:5], 2, v[2:3]
	s_and_saveexec_b64 s[8:9], vcc
	s_cbranch_execz .LBB2_112
; %bb.109:
	v_lshlrev_b64 v[8:9], 2, v[0:1]
	v_mov_b32_e32 v7, s29
	v_add_co_u32_e32 v8, vcc, s28, v8
	v_addc_co_u32_e32 v7, vcc, v7, v9, vcc
	v_add_co_u32_e32 v8, vcc, v8, v4
	v_sub_u32_e32 v3, s24, v2
	v_addc_co_u32_e32 v9, vcc, v7, v5, vcc
	v_and_b32_e32 v7, -2, v6
	v_lshl_add_u32 v3, v3, 2, v12
	s_mov_b32 s25, s24
	s_add_i32 s26, s24, -1
	s_mov_b32 s27, s24
	s_mov_b32 s28, s33
	;; [unrolled: 1-line block ×4, first 2 shown]
	s_mov_b64 s[14:15], 0
	v_mov_b32_e32 v10, v7
.LBB2_110:                              ; =>This Inner Loop Header: Depth=1
	s_sub_i32 s1, s24, s27
	s_sub_i32 s31, s25, s26
	s_ashr_i32 s35, s27, 31
	s_ashr_i32 s36, s26, 31
	s_mul_i32 s31, s31, s28
	s_mul_i32 s1, s1, s33
	s_mul_hi_u32 s37, s29, s26
	s_mul_hi_u32 s39, s10, s27
	s_mul_i32 s36, s29, s36
	s_mul_i32 s35, s10, s35
	v_lshl_add_u32 v11, s1, 2, v3
	v_lshl_add_u32 v13, s31, 2, v3
	s_mul_i32 s38, s30, s26
	s_mul_i32 s40, s11, s27
	s_add_i32 s1, s37, s36
	s_add_i32 s31, s39, s35
	ds_read_b32 v11, v11
	ds_read_b32 v13, v13
	s_mul_i32 s0, s29, s26
	s_mul_i32 s34, s10, s27
	v_add_u32_e32 v10, -2, v10
	s_add_i32 s1, s1, s38
	s_add_i32 s35, s31, s40
	s_add_i32 s26, s26, -2
	s_add_i32 s27, s27, -2
	v_cmp_eq_u32_e32 vcc, 0, v10
	s_lshl_b64 s[34:35], s[34:35], 2
	s_lshl_b64 s[0:1], s[0:1], 2
	v_mov_b32_e32 v15, s35
	s_or_b64 s[14:15], vcc, s[14:15]
	v_add_co_u32_e32 v16, vcc, s34, v8
	v_mov_b32_e32 v18, s1
	v_add_co_u32_e64 v14, s[0:1], s0, v8
	v_addc_co_u32_e32 v17, vcc, v9, v15, vcc
	v_addc_co_u32_e64 v15, vcc, v9, v18, s[0:1]
	s_waitcnt lgkmcnt(1)
	global_store_dword v[16:17], v11, off
	s_waitcnt lgkmcnt(0)
	global_store_dword v[14:15], v13, off
	s_andn2_b64 exec, exec, s[14:15]
	s_cbranch_execnz .LBB2_110
; %bb.111:
	s_or_b64 exec, exec, s[14:15]
	v_cmp_ne_u32_e32 vcc, v6, v7
	v_sub_u32_e32 v8, s24, v7
	s_orn2_b64 s[0:1], vcc, exec
.LBB2_112:
	s_or_b64 exec, exec, s[8:9]
	s_and_b64 exec, exec, s[0:1]
	s_cbranch_execz .LBB2_115
; %bb.113:
	v_mad_i64_i32 v[6:7], s[0:1], v8, s10, 0
	s_lshl_b64 s[0:1], s[22:23], 2
	s_add_u32 s0, s0, s12
	s_addc_u32 s1, s1, s13
	s_add_u32 s0, s0, s20
	v_lshlrev_b64 v[6:7], 2, v[6:7]
	s_addc_u32 s1, s1, s21
	v_mov_b32_e32 v9, s1
	v_add_co_u32_e32 v10, vcc, s0, v6
	v_addc_co_u32_e32 v9, vcc, v9, v7, vcc
	v_lshlrev_b64 v[6:7], 2, v[0:1]
	v_add_co_u32_e32 v6, vcc, v10, v6
	v_addc_co_u32_e32 v7, vcc, v9, v7, vcc
	s_lshl_b64 s[0:1], s[18:19], 2
	v_mov_b32_e32 v9, s1
	v_add_co_u32_e32 v6, vcc, s0, v6
	v_addc_co_u32_e32 v7, vcc, v7, v9, vcc
	v_add_co_u32_e32 v4, vcc, v6, v4
	v_addc_co_u32_e32 v5, vcc, v7, v5, vcc
	s_lshl_b64 s[8:9], s[10:11], 2
	v_mov_b32_e32 v6, s17
	v_add_co_u32_e32 v4, vcc, s16, v4
	s_sub_u32 s8, 0, s8
	v_addc_co_u32_e32 v5, vcc, v6, v5, vcc
	s_subb_u32 s14, 0, s9
	s_lshl_b32 s9, s33, 2
	v_lshlrev_b32_e32 v6, 2, v8
	v_sub_u32_e32 v6, s9, v6
	v_mul_lo_u32 v6, s33, v6
	v_lshlrev_b32_e32 v7, 2, v2
	v_sub_u32_e32 v6, v6, v7
	v_add_u32_e32 v3, 1, v8
	s_mov_b64 s[0:1], 0
	v_add3_u32 v6, v6, v12, -4
	v_mov_b32_e32 v7, s14
.LBB2_114:                              ; =>This Inner Loop Header: Depth=1
	ds_read_b32 v8, v6
	v_add_u32_e32 v3, -1, v3
	v_cmp_le_i32_e32 vcc, v3, v2
	s_or_b64 s[0:1], vcc, s[0:1]
	v_add_u32_e32 v6, s9, v6
	s_waitcnt lgkmcnt(0)
	global_store_dword v[4:5], v8, off
	v_add_co_u32_e32 v4, vcc, s8, v4
	v_addc_co_u32_e32 v5, vcc, v5, v7, vcc
	s_andn2_b64 exec, exec, s[0:1]
	s_cbranch_execnz .LBB2_114
.LBB2_115:
	s_or_b64 exec, exec, s[2:3]
	s_cbranch_execnz .LBB2_126
.LBB2_116:
	v_cmp_lt_i32_e32 vcc, -1, v2
	s_and_b64 exec, exec, vcc
	s_cbranch_execz .LBB2_126
; %bb.117:
	s_cmp_lg_u32 s10, 1
	v_mov_b32_e32 v3, 0
	v_cmp_eq_u32_e32 vcc, 0, v2
	s_cselect_b64 s[0:1], -1, 0
	s_mov_b32 s14, 0
	s_or_b64 s[2:3], vcc, s[0:1]
	s_mov_b64 s[0:1], 0
	v_lshlrev_b64 v[6:7], 2, v[0:1]
	v_lshlrev_b64 v[4:5], 2, v[2:3]
                                        ; implicit-def: $sgpr8_sgpr9
	s_and_saveexec_b64 s[18:19], s[2:3]
	s_xor_b64 s[2:3], exec, s[18:19]
; %bb.118:
	s_add_u32 s8, s20, s12
	s_mov_b64 s[0:1], exec
	s_addc_u32 s9, s21, s13
	v_lshlrev_b64 v[6:7], 2, v[0:1]
	v_lshlrev_b64 v[4:5], 2, v[2:3]
; %bb.119:
	s_or_saveexec_b64 s[2:3], s[2:3]
	v_add_u32_e32 v13, 1, v2
	v_mov_b32_e32 v3, s14
	v_pk_mov_b32 v[0:1], s[8:9], s[8:9] op_sel:[0,1]
	v_pk_mov_b32 v[8:9], s[6:7], s[6:7] op_sel:[0,1]
	;; [unrolled: 1-line block ×3, first 2 shown]
	s_xor_b64 exec, exec, s[2:3]
	s_cbranch_execz .LBB2_123
; %bb.120:
	s_add_u32 s8, s20, s12
	s_addc_u32 s9, s21, s13
	s_add_u32 s12, s8, s6
	s_addc_u32 s13, s9, s7
	;; [unrolled: 2-line block ×3, first 2 shown]
	v_mov_b32_e32 v0, s13
	v_add_co_u32_e32 v1, vcc, s12, v6
	v_addc_co_u32_e32 v0, vcc, v0, v7, vcc
	v_add_co_u32_e32 v1, vcc, v1, v4
	v_addc_co_u32_e32 v9, vcc, v0, v5, vcc
	v_and_b32_e32 v3, 0x7ffffffe, v13
	v_mov_b32_e32 v10, s17
	v_add_co_u32_e32 v0, vcc, s16, v1
	v_lshl_add_u32 v8, v2, 2, v12
	s_mov_b32 s14, s33
	v_addc_co_u32_e32 v1, vcc, v10, v9, vcc
	s_mov_b32 s15, 1
	s_mov_b32 s18, 0
	s_mov_b64 s[12:13], 0
	v_mov_b32_e32 v9, v3
.LBB2_121:                              ; =>This Inner Loop Header: Depth=1
	s_mul_i32 s19, s15, s14
	s_mul_i32 s20, s18, s33
	v_lshl_add_u32 v10, s20, 2, v8
	v_lshl_add_u32 v11, s19, 2, v8
	ds_read_b32 v10, v10
	ds_read_b32 v11, v11
	v_add_u32_e32 v9, -2, v9
	s_add_i32 s18, s18, 2
	s_add_i32 s15, s15, 2
	v_cmp_eq_u32_e32 vcc, 0, v9
	s_or_b64 s[12:13], vcc, s[12:13]
	s_waitcnt lgkmcnt(0)
	global_store_dwordx2 v[0:1], v[10:11], off
	v_add_co_u32_e32 v0, vcc, 8, v0
	v_addc_co_u32_e32 v1, vcc, 0, v1, vcc
	s_andn2_b64 exec, exec, s[12:13]
	s_cbranch_execnz .LBB2_121
; %bb.122:
	s_or_b64 exec, exec, s[12:13]
	v_cmp_ne_u32_e32 vcc, v13, v3
	v_pk_mov_b32 v[10:11], s[4:5], s[4:5] op_sel:[0,1]
	s_andn2_b64 s[0:1], s[0:1], exec
	s_and_b64 s[4:5], vcc, exec
	v_pk_mov_b32 v[0:1], s[8:9], s[8:9] op_sel:[0,1]
	v_pk_mov_b32 v[8:9], s[6:7], s[6:7] op_sel:[0,1]
	s_or_b64 s[0:1], s[0:1], s[4:5]
.LBB2_123:
	s_or_b64 exec, exec, s[2:3]
	s_and_b64 exec, exec, s[0:1]
	s_cbranch_execz .LBB2_126
; %bb.124:
	v_mad_u64_u32 v[14:15], s[0:1], s10, v3, 0
	v_mov_b32_e32 v16, v15
	v_mad_u64_u32 v[16:17], s[0:1], s11, v3, v[16:17]
	v_mov_b32_e32 v15, v16
	v_lshlrev_b64 v[14:15], 2, v[14:15]
	v_add_co_u32_e32 v0, vcc, v0, v14
	v_addc_co_u32_e32 v1, vcc, v1, v15, vcc
	v_add_co_u32_e32 v0, vcc, v0, v8
	v_addc_co_u32_e32 v1, vcc, v1, v9, vcc
	;; [unrolled: 2-line block ×4, first 2 shown]
	v_add_co_u32_e32 v0, vcc, v0, v4
	v_sub_u32_e32 v13, v13, v3
	v_addc_co_u32_e32 v1, vcc, v1, v5, vcc
	v_mul_lo_u32 v3, v3, s33
	v_mov_b32_e32 v4, s17
	v_add_co_u32_e32 v0, vcc, s16, v0
	s_lshl_b64 s[0:1], s[10:11], 2
	v_lshlrev_b32_e32 v3, 2, v3
	v_lshlrev_b32_e32 v2, 2, v2
	v_addc_co_u32_e32 v1, vcc, v4, v1, vcc
	v_add3_u32 v2, v3, v2, v12
	s_lshl_b32 s4, s33, 2
	s_mov_b64 s[2:3], 0
	v_mov_b32_e32 v3, s1
.LBB2_125:                              ; =>This Inner Loop Header: Depth=1
	ds_read_b32 v4, v2
	v_add_u32_e32 v13, -1, v13
	v_cmp_eq_u32_e32 vcc, 0, v13
	s_or_b64 s[2:3], vcc, s[2:3]
	v_add_u32_e32 v2, s4, v2
	s_waitcnt lgkmcnt(0)
	global_store_dword v[0:1], v4, off
	v_add_co_u32_e32 v0, vcc, s0, v0
	v_addc_co_u32_e32 v1, vcc, v1, v3, vcc
	s_andn2_b64 exec, exec, s[2:3]
	s_cbranch_execnz .LBB2_125
.LBB2_126:
	s_endpgm
	.section	.rodata,"a",@progbits
	.p2align	6, 0x0
	.amdhsa_kernel _ZL29rocblas_trtri_diagonal_kernelILi16EfPKfPfEv13rocblas_fill_17rocblas_diagonal_iT1_lillT2_lilli
		.amdhsa_group_segment_fixed_size 4096
		.amdhsa_private_segment_fixed_size 0
		.amdhsa_kernarg_size 100
		.amdhsa_user_sgpr_count 6
		.amdhsa_user_sgpr_private_segment_buffer 1
		.amdhsa_user_sgpr_dispatch_ptr 0
		.amdhsa_user_sgpr_queue_ptr 0
		.amdhsa_user_sgpr_kernarg_segment_ptr 1
		.amdhsa_user_sgpr_dispatch_id 0
		.amdhsa_user_sgpr_flat_scratch_init 0
		.amdhsa_user_sgpr_kernarg_preload_length 0
		.amdhsa_user_sgpr_kernarg_preload_offset 0
		.amdhsa_user_sgpr_private_segment_size 0
		.amdhsa_uses_dynamic_stack 0
		.amdhsa_system_sgpr_private_segment_wavefront_offset 0
		.amdhsa_system_sgpr_workgroup_id_x 1
		.amdhsa_system_sgpr_workgroup_id_y 0
		.amdhsa_system_sgpr_workgroup_id_z 1
		.amdhsa_system_sgpr_workgroup_info 0
		.amdhsa_system_vgpr_workitem_id 0
		.amdhsa_next_free_vgpr 33
		.amdhsa_next_free_sgpr 49
		.amdhsa_accum_offset 36
		.amdhsa_reserve_vcc 1
		.amdhsa_reserve_flat_scratch 0
		.amdhsa_float_round_mode_32 0
		.amdhsa_float_round_mode_16_64 0
		.amdhsa_float_denorm_mode_32 3
		.amdhsa_float_denorm_mode_16_64 3
		.amdhsa_dx10_clamp 1
		.amdhsa_ieee_mode 1
		.amdhsa_fp16_overflow 0
		.amdhsa_tg_split 0
		.amdhsa_exception_fp_ieee_invalid_op 0
		.amdhsa_exception_fp_denorm_src 0
		.amdhsa_exception_fp_ieee_div_zero 0
		.amdhsa_exception_fp_ieee_overflow 0
		.amdhsa_exception_fp_ieee_underflow 0
		.amdhsa_exception_fp_ieee_inexact 0
		.amdhsa_exception_int_div_zero 0
	.end_amdhsa_kernel
	.section	.text._ZL29rocblas_trtri_diagonal_kernelILi16EfPKfPfEv13rocblas_fill_17rocblas_diagonal_iT1_lillT2_lilli,"axG",@progbits,_ZL29rocblas_trtri_diagonal_kernelILi16EfPKfPfEv13rocblas_fill_17rocblas_diagonal_iT1_lillT2_lilli,comdat
.Lfunc_end2:
	.size	_ZL29rocblas_trtri_diagonal_kernelILi16EfPKfPfEv13rocblas_fill_17rocblas_diagonal_iT1_lillT2_lilli, .Lfunc_end2-_ZL29rocblas_trtri_diagonal_kernelILi16EfPKfPfEv13rocblas_fill_17rocblas_diagonal_iT1_lillT2_lilli
                                        ; -- End function
	.section	.AMDGPU.csdata,"",@progbits
; Kernel info:
; codeLenInByte = 5108
; NumSgprs: 53
; NumVgprs: 33
; NumAgprs: 0
; TotalNumVgprs: 33
; ScratchSize: 0
; MemoryBound: 0
; FloatMode: 240
; IeeeMode: 1
; LDSByteSize: 4096 bytes/workgroup (compile time only)
; SGPRBlocks: 6
; VGPRBlocks: 4
; NumSGPRsForWavesPerEU: 53
; NumVGPRsForWavesPerEU: 33
; AccumOffset: 36
; Occupancy: 8
; WaveLimiterHint : 0
; COMPUTE_PGM_RSRC2:SCRATCH_EN: 0
; COMPUTE_PGM_RSRC2:USER_SGPR: 6
; COMPUTE_PGM_RSRC2:TRAP_HANDLER: 0
; COMPUTE_PGM_RSRC2:TGID_X_EN: 1
; COMPUTE_PGM_RSRC2:TGID_Y_EN: 0
; COMPUTE_PGM_RSRC2:TGID_Z_EN: 1
; COMPUTE_PGM_RSRC2:TIDIG_COMP_CNT: 0
; COMPUTE_PGM_RSRC3_GFX90A:ACCUM_OFFSET: 8
; COMPUTE_PGM_RSRC3_GFX90A:TG_SPLIT: 0
	.section	.text._ZL30rocblas_trtri_remainder_kernelILi16EfPKfPfEv13rocblas_fill_17rocblas_diagonal_iT1_lillT2_lilli,"axG",@progbits,_ZL30rocblas_trtri_remainder_kernelILi16EfPKfPfEv13rocblas_fill_17rocblas_diagonal_iT1_lillT2_lilli,comdat
	.globl	_ZL30rocblas_trtri_remainder_kernelILi16EfPKfPfEv13rocblas_fill_17rocblas_diagonal_iT1_lillT2_lilli ; -- Begin function _ZL30rocblas_trtri_remainder_kernelILi16EfPKfPfEv13rocblas_fill_17rocblas_diagonal_iT1_lillT2_lilli
	.p2align	8
	.type	_ZL30rocblas_trtri_remainder_kernelILi16EfPKfPfEv13rocblas_fill_17rocblas_diagonal_iT1_lillT2_lilli,@function
_ZL30rocblas_trtri_remainder_kernelILi16EfPKfPfEv13rocblas_fill_17rocblas_diagonal_iT1_lillT2_lilli: ; @_ZL30rocblas_trtri_remainder_kernelILi16EfPKfPfEv13rocblas_fill_17rocblas_diagonal_iT1_lillT2_lilli
; %bb.0:
	s_load_dwordx4 s[16:19], s[4:5], 0x0
	s_waitcnt lgkmcnt(0)
	s_cmp_lt_i32 s18, 1
	s_cbranch_scc1 .LBB3_65
; %bb.1:
	s_load_dwordx8 s[8:15], s[4:5], 0x28
	v_cmp_le_u32_e64 s[2:3], s18, v0
	v_cmp_gt_u32_e64 s[0:1], s18, v0
	s_mov_b64 s[20:21], -1
	s_and_saveexec_b64 s[24:25], s[0:1]
	s_cbranch_execz .LBB3_24
; %bb.2:
	s_load_dwordx4 s[20:23], s[4:5], 0x10
	s_load_dword s26, s[4:5], 0x20
	s_waitcnt lgkmcnt(0)
	s_mul_i32 s9, s7, s9
	s_mul_hi_u32 s19, s7, s8
	s_add_i32 s9, s19, s9
	s_mul_i32 s8, s7, s8
	s_lshl_b64 s[28:29], s[8:9], 2
	s_add_u32 s8, s20, s28
	s_addc_u32 s9, s21, s29
	s_lshl_b64 s[22:23], s[22:23], 2
	s_add_u32 s19, s8, s22
	s_addc_u32 s27, s9, s23
	s_mul_i32 s8, s6, s11
	s_mul_hi_u32 s9, s6, s10
	s_add_i32 s9, s9, s8
	s_mul_i32 s8, s6, s10
	s_lshl_b64 s[10:11], s[8:9], 2
	s_add_u32 s19, s19, s10
	s_addc_u32 s33, s27, s11
	s_cmpk_lg_i32 s16, 0x7a
	s_cbranch_scc0 .LBB3_11
; %bb.3:
	s_add_i32 s8, s18, -1
	s_ashr_i32 s27, s26, 31
	v_min_i32_e32 v1, s8, v0
	v_sub_u32_e32 v1, s18, v1
	s_cmp_lg_u32 s18, 1
	v_cmp_gt_u32_e32 vcc, 2, v1
	s_cselect_b64 s[8:9], -1, 0
	s_or_b64 s[8:9], vcc, s[8:9]
	s_mov_b64 s[30:31], 0
	s_and_saveexec_b64 s[34:35], s[8:9]
	s_xor_b64 s[8:9], exec, s[34:35]
	s_cbranch_execz .LBB3_7
; %bb.4:
	s_lshl_b32 s34, s18, 2
	s_ashr_i32 s30, s18, 31
	s_add_u32 s35, s18, -1
	s_addc_u32 s30, s30, -1
	s_mul_i32 s31, s35, s27
	s_mul_hi_u32 s36, s35, s26
	s_add_i32 s31, s36, s31
	s_mul_i32 s30, s30, s26
	s_add_i32 s31, s31, s30
	s_mul_i32 s30, s35, s26
	s_lshl_b64 s[30:31], s[30:31], 2
	s_add_u32 s30, s30, s10
	s_addc_u32 s31, s31, s11
	s_add_u32 s30, s30, s28
	s_addc_u32 s31, s31, s29
	;; [unrolled: 2-line block ×4, first 2 shown]
	s_lshl_b64 s[36:37], s[26:27], 2
	v_lshlrev_b32_e32 v2, 2, v0
	s_sub_u32 s35, 0, s36
	v_sub_u32_e32 v1, s34, v2
	v_mov_b32_e32 v3, s31
	v_add_co_u32_e32 v2, vcc, s30, v2
	s_subb_u32 s36, 0, s37
	v_add_u32_e32 v1, -4, v1
	v_addc_co_u32_e32 v3, vcc, 0, v3, vcc
	s_mov_b64 s[30:31], 0
	v_mov_b32_e32 v4, s36
	s_mov_b32 s36, s18
.LBB3_5:                                ; =>This Inner Loop Header: Depth=1
	global_load_dword v5, v[2:3], off
	v_add_co_u32_e32 v2, vcc, s35, v2
	s_add_i32 s36, s36, -1
	v_addc_co_u32_e32 v3, vcc, v3, v4, vcc
	v_cmp_le_i32_e32 vcc, s36, v0
	s_or_b64 s[30:31], vcc, s[30:31]
	s_waitcnt vmcnt(0)
	ds_write_b32 v1, v5
	v_add_u32_e32 v1, s34, v1
	s_andn2_b64 exec, exec, s[30:31]
	s_cbranch_execnz .LBB3_5
; %bb.6:
	s_or_b64 exec, exec, s[30:31]
	s_mov_b64 s[30:31], exec
.LBB3_7:
	s_andn2_saveexec_b64 s[34:35], s[8:9]
	s_cbranch_execz .LBB3_10
; %bb.8:
	v_lshlrev_b32_e32 v3, 2, v0
	v_mov_b32_e32 v2, s33
	v_add_co_u32_e32 v1, vcc, s19, v3
	v_addc_co_u32_e32 v2, vcc, 0, v2, vcc
	s_mov_b32 s36, s26
	s_mov_b32 s37, s27
	;; [unrolled: 1-line block ×3, first 2 shown]
	v_sub_u32_e32 v3, 0, v3
	s_mov_b32 s39, -1
.LBB3_9:                                ; =>This Inner Loop Header: Depth=1
	s_ashr_i32 s9, s38, 31
	s_ashr_i32 s41, s39, 31
	s_mul_hi_u32 s42, s36, s39
	s_mul_hi_u32 s44, s26, s38
	s_mul_i32 s41, s36, s41
	s_mul_i32 s9, s26, s9
	;; [unrolled: 1-line block ×4, first 2 shown]
	s_add_i32 s41, s42, s41
	s_add_i32 s42, s44, s9
	s_mul_i32 s8, s36, s39
	s_mul_i32 s40, s26, s38
	s_add_i32 s9, s41, s43
	s_add_i32 s41, s42, s45
	s_lshl_b64 s[40:41], s[40:41], 2
	s_lshl_b64 s[8:9], s[8:9], 2
	v_mov_b32_e32 v5, s41
	v_mov_b32_e32 v8, s9
	v_add_co_u32_e32 v4, vcc, s8, v1
	v_add_co_u32_e64 v6, s[8:9], s40, v1
	v_addc_co_u32_e64 v7, s[8:9], v2, v5, s[8:9]
	v_addc_co_u32_e32 v5, vcc, v2, v8, vcc
	global_load_dword v8, v[6:7], off
	global_load_dword v9, v[4:5], off
	s_add_i32 s38, s38, -2
	s_add_i32 s39, s39, -2
	s_waitcnt vmcnt(0)
	ds_write2_b32 v3, v8, v9 offset1:1
	v_add_u32_e32 v3, 8, v3
	s_branch .LBB3_9
.LBB3_10:
	s_or_b64 exec, exec, s[34:35]
	s_branch .LBB3_23
.LBB3_11:
	s_mov_b64 s[30:31], 0
	s_cbranch_execz .LBB3_23
; %bb.12:
	v_mov_b32_e32 v4, 0
	v_add_u32_e32 v1, 1, v0
	v_cmp_gt_u32_e64 s[8:9], 3, v0
	v_cmp_lt_u32_e32 vcc, 2, v0
	s_and_saveexec_b64 s[30:31], vcc
	s_cbranch_execz .LBB3_19
; %bb.13:
	s_cmp_eq_u32 s26, 1
	s_cselect_b64 s[34:35], -1, 0
	s_cmp_eq_u32 s18, 1
	s_cselect_b64 s[36:37], -1, 0
	s_and_b64 s[34:35], s[34:35], s[36:37]
	s_and_b64 vcc, exec, s[34:35]
	s_cbranch_vccz .LBB3_17
; %bb.14:
	v_lshlrev_b32_e32 v5, 2, v0
	v_mov_b32_e32 v3, s33
	v_add_co_u32_e32 v2, vcc, s19, v5
	v_and_b32_e32 v4, 0x7fe, v1
	v_addc_co_u32_e32 v3, vcc, 0, v3, vcc
	s_mov_b64 s[34:35], 0
	v_mov_b32_e32 v6, v4
.LBB3_15:                               ; =>This Inner Loop Header: Depth=1
	global_load_dwordx2 v[8:9], v[2:3], off
	v_add_co_u32_e32 v2, vcc, 8, v2
	v_addc_co_u32_e32 v3, vcc, 0, v3, vcc
	v_add_u32_e32 v6, -2, v6
	v_cmp_eq_u32_e32 vcc, 0, v6
	s_or_b64 s[34:35], vcc, s[34:35]
	s_waitcnt vmcnt(0)
	ds_write2_b32 v5, v8, v9 offset1:1
	v_add_u32_e32 v5, 8, v5
	s_andn2_b64 exec, exec, s[34:35]
	s_cbranch_execnz .LBB3_15
; %bb.16:
	s_or_b64 exec, exec, s[34:35]
	v_cmp_ne_u32_e64 s[34:35], v1, v4
	s_branch .LBB3_18
.LBB3_17:
	s_mov_b64 s[34:35], -1
	v_mov_b32_e32 v4, 0
.LBB3_18:
	s_andn2_b64 s[8:9], s[8:9], exec
	s_and_b64 s[34:35], s[34:35], exec
	s_or_b64 s[8:9], s[8:9], s[34:35]
.LBB3_19:
	s_or_b64 exec, exec, s[30:31]
	s_and_saveexec_b64 s[30:31], s[8:9]
	s_cbranch_execz .LBB3_22
; %bb.20:
	s_ashr_i32 s27, s26, 31
	s_lshl_b32 s19, s18, 2
	v_mul_lo_u32 v2, v4, s18
	s_add_u32 s10, s10, s28
	v_add_lshl_u32 v5, v0, v2, 2
	s_addc_u32 s11, s11, s29
	v_mad_i64_i32 v[2:3], s[8:9], s26, v4, 0
	s_add_u32 s8, s22, s10
	v_lshlrev_b64 v[2:3], 2, v[2:3]
	s_addc_u32 s9, s23, s11
	v_sub_u32_e32 v1, v1, v4
	v_mov_b32_e32 v4, s9
	v_add_co_u32_e32 v2, vcc, s8, v2
	v_addc_co_u32_e32 v3, vcc, v4, v3, vcc
	v_lshlrev_b32_e32 v4, 2, v0
	v_add_co_u32_e32 v2, vcc, v2, v4
	v_addc_co_u32_e32 v3, vcc, 0, v3, vcc
	v_mov_b32_e32 v4, s21
	v_add_co_u32_e32 v2, vcc, s20, v2
	s_lshl_b64 s[8:9], s[26:27], 2
	v_addc_co_u32_e32 v3, vcc, v4, v3, vcc
	s_mov_b64 s[10:11], 0
	v_mov_b32_e32 v4, s9
.LBB3_21:                               ; =>This Inner Loop Header: Depth=1
	global_load_dword v6, v[2:3], off
	v_add_co_u32_e32 v2, vcc, s8, v2
	v_add_u32_e32 v1, -1, v1
	v_addc_co_u32_e32 v3, vcc, v3, v4, vcc
	v_cmp_eq_u32_e32 vcc, 0, v1
	s_or_b64 s[10:11], vcc, s[10:11]
	s_waitcnt vmcnt(0)
	ds_write_b32 v5, v6
	v_add_u32_e32 v5, s19, v5
	s_andn2_b64 exec, exec, s[10:11]
	s_cbranch_execnz .LBB3_21
.LBB3_22:
	s_or_b64 exec, exec, s[30:31]
	s_mov_b64 s[30:31], -1
.LBB3_23:
	s_orn2_b64 s[20:21], s[30:31], exec
.LBB3_24:
	s_or_b64 exec, exec, s[24:25]
	s_waitcnt lgkmcnt(0)
	s_and_saveexec_b64 s[8:9], s[20:21]
	s_cbranch_execz .LBB3_65
; %bb.25:
	s_barrier
	s_waitcnt lgkmcnt(0)
                                        ; implicit-def: $vgpr2
	s_and_saveexec_b64 s[8:9], s[2:3]
	s_xor_b64 s[2:3], exec, s[8:9]
; %bb.26:
	v_mad_u64_u32 v[2:3], s[8:9], v0, s18, v[0:1]
; %bb.27:
	s_andn2_saveexec_b64 s[2:3], s[2:3]
	s_cbranch_execz .LBB3_33
; %bb.28:
	v_mad_u64_u32 v[2:3], s[8:9], v0, s18, v[0:1]
	s_cmpk_eq_i32 s17, 0x84
	v_lshlrev_b32_e32 v1, 2, v2
	v_mov_b32_e32 v4, 1.0
	s_cbranch_scc1 .LBB3_32
; %bb.29:
	ds_read_b32 v3, v1
	v_mov_b32_e32 v4, 1.0
	s_waitcnt lgkmcnt(0)
	v_cmp_neq_f32_e32 vcc, 0, v3
	s_and_saveexec_b64 s[8:9], vcc
; %bb.30:
	v_div_scale_f32 v4, s[10:11], v3, v3, 1.0
	v_rcp_f32_e32 v5, v4
	v_div_scale_f32 v6, vcc, 1.0, v3, 1.0
	v_fma_f32 v7, -v4, v5, 1.0
	v_fmac_f32_e32 v5, v7, v5
	v_mul_f32_e32 v7, v6, v5
	v_fma_f32 v8, -v4, v7, v6
	v_fmac_f32_e32 v7, v8, v5
	v_fma_f32 v4, -v4, v7, v6
	v_div_fmas_f32 v4, v4, v5, v7
	v_div_fixup_f32 v4, v4, v3, 1.0
; %bb.31:
	s_or_b64 exec, exec, s[8:9]
.LBB3_32:
	ds_write_b32 v1, v4
.LBB3_33:
	s_or_b64 exec, exec, s[2:3]
	s_lshl_b32 s17, s18, 2
	v_lshlrev_b32_e32 v1, 2, v2
	s_mov_b32 s8, 4
	s_add_i32 s9, s17, 4
	v_add_lshl_u32 v2, v0, s18, 2
	s_mov_b32 s10, 0
	s_waitcnt lgkmcnt(0)
	s_barrier
	s_branch .LBB3_35
.LBB3_34:                               ;   in Loop: Header=BB3_35 Depth=1
	s_add_i32 s8, s8, s9
	s_cmp_eq_u32 s10, s18
	v_add_u32_e32 v2, s17, v2
	s_barrier
	s_cbranch_scc1 .LBB3_44
.LBB3_35:                               ; =>This Loop Header: Depth=1
                                        ;     Child Loop BB3_40 Depth 2
	s_mul_i32 s11, s10, s18
	v_cmp_lt_u32_e32 vcc, s10, v0
	v_add_lshl_u32 v3, s11, v0, 2
	v_mov_b32_e32 v4, 0
	s_and_saveexec_b64 s[2:3], vcc
	s_cbranch_execz .LBB3_37
; %bb.36:                               ;   in Loop: Header=BB3_35 Depth=1
	s_add_i32 s11, s11, s10
	s_lshl_b32 s11, s11, 2
	v_mov_b32_e32 v4, s11
	ds_read_b32 v5, v3
	ds_read_b32 v4, v4
	s_waitcnt lgkmcnt(0)
	v_fma_f32 v4, v5, v4, 0
.LBB3_37:                               ;   in Loop: Header=BB3_35 Depth=1
	s_or_b64 exec, exec, s[2:3]
	s_add_i32 s10, s10, 1
	s_cmp_ge_i32 s10, s18
	s_barrier
	s_cbranch_scc1 .LBB3_34
; %bb.38:                               ;   in Loop: Header=BB3_35 Depth=1
	v_mov_b32_e32 v5, v2
	s_mov_b32 s11, s8
	s_mov_b32 s19, s10
	s_branch .LBB3_40
.LBB3_39:                               ;   in Loop: Header=BB3_40 Depth=2
	s_or_b64 exec, exec, s[2:3]
	s_add_i32 s19, s19, 1
	s_add_i32 s11, s11, 4
	s_cmp_ge_i32 s19, s18
	v_add_u32_e32 v5, s17, v5
	s_barrier
	s_cbranch_scc1 .LBB3_34
.LBB3_40:                               ;   Parent Loop BB3_35 Depth=1
                                        ; =>  This Inner Loop Header: Depth=2
	v_cmp_eq_u32_e32 vcc, s19, v0
	s_and_saveexec_b64 s[2:3], vcc
	s_cbranch_execz .LBB3_42
; %bb.41:                               ;   in Loop: Header=BB3_40 Depth=2
	ds_read_b32 v6, v1
	s_waitcnt lgkmcnt(0)
	v_mul_f32_e64 v6, -v4, v6
	ds_write_b32 v3, v6
.LBB3_42:                               ;   in Loop: Header=BB3_40 Depth=2
	s_or_b64 exec, exec, s[2:3]
	v_cmp_lt_u32_e32 vcc, s19, v0
	s_waitcnt lgkmcnt(0)
	s_barrier
	s_and_saveexec_b64 s[2:3], vcc
	s_cbranch_execz .LBB3_39
; %bb.43:                               ;   in Loop: Header=BB3_40 Depth=2
	v_mov_b32_e32 v7, s11
	ds_read_b32 v6, v5
	ds_read_b32 v7, v7
	s_waitcnt lgkmcnt(0)
	v_fmac_f32_e32 v4, v6, v7
	s_branch .LBB3_39
.LBB3_44:
	s_and_b64 exec, exec, s[0:1]
	s_cbranch_execz .LBB3_65
; %bb.45:
	s_load_dwordx4 s[0:3], s[4:5], 0x50
	s_load_dword s8, s[4:5], 0x48
	s_waitcnt lgkmcnt(0)
	s_mul_i32 s1, s7, s1
	s_mul_hi_u32 s4, s7, s0
	s_mul_i32 s0, s7, s0
	s_add_i32 s1, s4, s1
	s_lshl_b64 s[10:11], s[0:1], 2
	s_add_u32 s0, s12, s10
	s_addc_u32 s1, s13, s11
	s_lshl_b64 s[4:5], s[14:15], 2
	s_add_u32 s9, s0, s4
	s_addc_u32 s14, s1, s5
	s_mul_i32 s0, s6, s3
	s_mul_hi_u32 s1, s6, s2
	s_add_i32 s1, s1, s0
	s_mul_i32 s0, s6, s2
	s_lshl_b64 s[6:7], s[0:1], 2
	s_add_u32 s19, s9, s6
	s_addc_u32 s20, s14, s7
	s_cmpk_lg_i32 s16, 0x7a
	s_mov_b64 s[0:1], -1
	s_cbranch_scc0 .LBB3_54
; %bb.46:
	s_add_i32 s2, s18, -1
	s_ashr_i32 s9, s8, 31
	v_min_i32_e32 v1, s2, v0
	v_sub_u32_e32 v1, s18, v1
	s_cmp_lg_u32 s18, 1
	v_cmp_gt_u32_e32 vcc, 2, v1
	s_cselect_b64 s[0:1], -1, 0
	s_or_b64 s[0:1], vcc, s[0:1]
	s_and_saveexec_b64 s[14:15], s[0:1]
	s_xor_b64 s[0:1], exec, s[14:15]
	s_cbranch_execz .LBB3_50
; %bb.47:
	s_add_u32 s14, s6, s10
	s_mul_i32 s3, s9, s2
	s_mul_hi_u32 s16, s8, s2
	s_addc_u32 s15, s7, s11
	s_add_i32 s3, s16, s3
	s_mul_i32 s2, s8, s2
	s_lshl_b64 s[2:3], s[2:3], 2
	s_add_u32 s2, s14, s2
	s_addc_u32 s3, s15, s3
	s_add_u32 s2, s2, s4
	s_addc_u32 s3, s3, s5
	;; [unrolled: 2-line block ×3, first 2 shown]
	s_lshl_b64 s[14:15], s[8:9], 2
	v_lshlrev_b32_e32 v1, 2, v0
	s_sub_u32 s14, 0, s14
	v_mov_b32_e32 v3, s3
	v_add_co_u32_e32 v2, vcc, s2, v1
	s_subb_u32 s15, 0, s15
	v_sub_u32_e32 v1, s17, v1
	v_addc_co_u32_e32 v3, vcc, 0, v3, vcc
	s_mov_b64 s[2:3], 0
	v_add_u32_e32 v1, -4, v1
	v_mov_b32_e32 v4, s15
	s_mov_b32 s15, s18
.LBB3_48:                               ; =>This Inner Loop Header: Depth=1
	ds_read_b32 v5, v1
	s_add_i32 s15, s15, -1
	v_cmp_le_i32_e32 vcc, s15, v0
	s_or_b64 s[2:3], vcc, s[2:3]
	v_add_u32_e32 v1, s17, v1
	s_waitcnt lgkmcnt(0)
	global_store_dword v[2:3], v5, off
	v_add_co_u32_e32 v2, vcc, s14, v2
	v_addc_co_u32_e32 v3, vcc, v3, v4, vcc
	s_andn2_b64 exec, exec, s[2:3]
	s_cbranch_execnz .LBB3_48
; %bb.49:
	s_or_b64 exec, exec, s[2:3]
.LBB3_50:
	s_andn2_saveexec_b64 s[14:15], s[0:1]
	s_cbranch_execz .LBB3_53
; %bb.51:
	v_lshlrev_b32_e32 v3, 2, v0
	v_mov_b32_e32 v2, s20
	v_add_co_u32_e32 v1, vcc, s19, v3
	v_addc_co_u32_e32 v2, vcc, 0, v2, vcc
	s_mov_b32 s16, s8
	s_mov_b32 s21, s9
	s_mov_b32 s22, 0
	v_sub_u32_e32 v3, 0, v3
	s_mov_b32 s23, -1
	s_and_b64 vcc, exec, 0
.LBB3_52:                               ; =>This Inner Loop Header: Depth=1
	ds_read2_b32 v[4:5], v3 offset1:1
	s_mul_i32 s1, s21, s23
	s_mul_hi_u32 s3, s16, s23
	s_mul_i32 s24, s9, s22
	s_mul_hi_u32 s25, s8, s22
	s_mul_i32 s2, s8, s22
	s_add_i32 s1, s3, s1
	s_add_i32 s3, s25, s24
	s_mul_i32 s0, s16, s23
	s_lshl_b64 s[2:3], s[2:3], 2
	s_lshl_b64 s[0:1], s[0:1], 2
	v_mov_b32_e32 v7, s3
	v_add_co_u32_e64 v8, s[2:3], s2, v1
	s_add_i32 s22, s22, -2
	s_add_i32 s23, s23, -2
	v_add_u32_e32 v3, 8, v3
	v_mov_b32_e32 v10, s1
	v_add_co_u32_e64 v6, s[0:1], s0, v1
	v_addc_co_u32_e64 v9, s[2:3], v2, v7, s[2:3]
	v_addc_co_u32_e64 v7, s[0:1], v2, v10, s[0:1]
	s_waitcnt lgkmcnt(0)
	global_store_dword v[8:9], v4, off
	global_store_dword v[6:7], v5, off
	s_mov_b64 vcc, vcc
	s_cbranch_vccz .LBB3_52
.LBB3_53:
	s_or_b64 exec, exec, s[14:15]
	s_mov_b64 s[0:1], 0
.LBB3_54:
	s_andn2_b64 vcc, exec, s[0:1]
	s_cbranch_vccnz .LBB3_65
; %bb.55:
	v_mov_b32_e32 v1, 0
	v_add_u32_e32 v4, 1, v0
	v_cmp_gt_u32_e64 s[0:1], 3, v0
	v_cmp_lt_u32_e32 vcc, 2, v0
	s_and_saveexec_b64 s[2:3], vcc
	s_cbranch_execz .LBB3_62
; %bb.56:
	s_cmp_eq_u32 s18, 1
	s_cselect_b64 s[14:15], -1, 0
	s_cmp_eq_u32 s8, 1
	s_cselect_b64 s[22:23], -1, 0
	s_and_b64 s[14:15], s[14:15], s[22:23]
	s_and_b64 vcc, exec, s[14:15]
	s_cbranch_vccz .LBB3_60
; %bb.57:
	v_lshlrev_b32_e32 v5, 2, v0
	v_mov_b32_e32 v1, s20
	v_add_co_u32_e32 v2, vcc, s19, v5
	v_addc_co_u32_e32 v3, vcc, 0, v1, vcc
	v_and_b32_e32 v1, 0x7fe, v4
	s_mov_b64 s[14:15], 0
	v_mov_b32_e32 v6, v1
.LBB3_58:                               ; =>This Inner Loop Header: Depth=1
	ds_read2_b32 v[8:9], v5 offset1:1
	v_add_u32_e32 v6, -2, v6
	v_cmp_eq_u32_e32 vcc, 0, v6
	s_or_b64 s[14:15], vcc, s[14:15]
	v_add_u32_e32 v5, 8, v5
	s_waitcnt lgkmcnt(0)
	global_store_dwordx2 v[2:3], v[8:9], off
	v_add_co_u32_e32 v2, vcc, 8, v2
	v_addc_co_u32_e32 v3, vcc, 0, v3, vcc
	s_andn2_b64 exec, exec, s[14:15]
	s_cbranch_execnz .LBB3_58
; %bb.59:
	s_or_b64 exec, exec, s[14:15]
	v_cmp_ne_u32_e64 s[14:15], v4, v1
	s_branch .LBB3_61
.LBB3_60:
	s_mov_b64 s[14:15], -1
	v_mov_b32_e32 v1, 0
.LBB3_61:
	s_andn2_b64 s[0:1], s[0:1], exec
	s_and_b64 s[14:15], s[14:15], exec
	s_or_b64 s[0:1], s[0:1], s[14:15]
.LBB3_62:
	s_or_b64 exec, exec, s[2:3]
	s_and_b64 exec, exec, s[0:1]
	s_cbranch_execz .LBB3_65
; %bb.63:
	s_ashr_i32 s9, s8, 31
	s_add_u32 s2, s6, s10
	s_addc_u32 s3, s7, s11
	v_mad_i64_i32 v[2:3], s[0:1], s8, v1, 0
	s_add_u32 s0, s4, s2
	v_lshlrev_b64 v[2:3], 2, v[2:3]
	s_addc_u32 s1, s5, s3
	v_mov_b32_e32 v5, s1
	v_add_co_u32_e32 v2, vcc, s0, v2
	v_addc_co_u32_e32 v3, vcc, v5, v3, vcc
	v_lshlrev_b32_e32 v5, 2, v0
	v_add_co_u32_e32 v2, vcc, v2, v5
	v_addc_co_u32_e32 v3, vcc, 0, v3, vcc
	v_sub_u32_e32 v4, v4, v1
	v_mov_b32_e32 v5, s13
	v_add_co_u32_e32 v2, vcc, s12, v2
	s_lshl_b64 s[0:1], s[8:9], 2
	v_mul_lo_u32 v1, v1, s18
	v_addc_co_u32_e32 v3, vcc, v5, v3, vcc
	v_add_lshl_u32 v0, v0, v1, 2
	s_mov_b64 s[2:3], 0
	v_mov_b32_e32 v1, s1
.LBB3_64:                               ; =>This Inner Loop Header: Depth=1
	ds_read_b32 v5, v0
	v_add_u32_e32 v4, -1, v4
	v_cmp_eq_u32_e32 vcc, 0, v4
	s_or_b64 s[2:3], vcc, s[2:3]
	v_add_u32_e32 v0, s17, v0
	s_waitcnt lgkmcnt(0)
	global_store_dword v[2:3], v5, off
	v_add_co_u32_e32 v2, vcc, s0, v2
	v_addc_co_u32_e32 v3, vcc, v3, v1, vcc
	s_andn2_b64 exec, exec, s[2:3]
	s_cbranch_execnz .LBB3_64
.LBB3_65:
	s_endpgm
	.section	.rodata,"a",@progbits
	.p2align	6, 0x0
	.amdhsa_kernel _ZL30rocblas_trtri_remainder_kernelILi16EfPKfPfEv13rocblas_fill_17rocblas_diagonal_iT1_lillT2_lilli
		.amdhsa_group_segment_fixed_size 4096
		.amdhsa_private_segment_fixed_size 0
		.amdhsa_kernarg_size 100
		.amdhsa_user_sgpr_count 6
		.amdhsa_user_sgpr_private_segment_buffer 1
		.amdhsa_user_sgpr_dispatch_ptr 0
		.amdhsa_user_sgpr_queue_ptr 0
		.amdhsa_user_sgpr_kernarg_segment_ptr 1
		.amdhsa_user_sgpr_dispatch_id 0
		.amdhsa_user_sgpr_flat_scratch_init 0
		.amdhsa_user_sgpr_kernarg_preload_length 0
		.amdhsa_user_sgpr_kernarg_preload_offset 0
		.amdhsa_user_sgpr_private_segment_size 0
		.amdhsa_uses_dynamic_stack 0
		.amdhsa_system_sgpr_private_segment_wavefront_offset 0
		.amdhsa_system_sgpr_workgroup_id_x 1
		.amdhsa_system_sgpr_workgroup_id_y 0
		.amdhsa_system_sgpr_workgroup_id_z 1
		.amdhsa_system_sgpr_workgroup_info 0
		.amdhsa_system_vgpr_workitem_id 0
		.amdhsa_next_free_vgpr 11
		.amdhsa_next_free_sgpr 46
		.amdhsa_accum_offset 12
		.amdhsa_reserve_vcc 1
		.amdhsa_reserve_flat_scratch 0
		.amdhsa_float_round_mode_32 0
		.amdhsa_float_round_mode_16_64 0
		.amdhsa_float_denorm_mode_32 3
		.amdhsa_float_denorm_mode_16_64 3
		.amdhsa_dx10_clamp 1
		.amdhsa_ieee_mode 1
		.amdhsa_fp16_overflow 0
		.amdhsa_tg_split 0
		.amdhsa_exception_fp_ieee_invalid_op 0
		.amdhsa_exception_fp_denorm_src 0
		.amdhsa_exception_fp_ieee_div_zero 0
		.amdhsa_exception_fp_ieee_overflow 0
		.amdhsa_exception_fp_ieee_underflow 0
		.amdhsa_exception_fp_ieee_inexact 0
		.amdhsa_exception_int_div_zero 0
	.end_amdhsa_kernel
	.section	.text._ZL30rocblas_trtri_remainder_kernelILi16EfPKfPfEv13rocblas_fill_17rocblas_diagonal_iT1_lillT2_lilli,"axG",@progbits,_ZL30rocblas_trtri_remainder_kernelILi16EfPKfPfEv13rocblas_fill_17rocblas_diagonal_iT1_lillT2_lilli,comdat
.Lfunc_end3:
	.size	_ZL30rocblas_trtri_remainder_kernelILi16EfPKfPfEv13rocblas_fill_17rocblas_diagonal_iT1_lillT2_lilli, .Lfunc_end3-_ZL30rocblas_trtri_remainder_kernelILi16EfPKfPfEv13rocblas_fill_17rocblas_diagonal_iT1_lillT2_lilli
                                        ; -- End function
	.section	.AMDGPU.csdata,"",@progbits
; Kernel info:
; codeLenInByte = 2264
; NumSgprs: 50
; NumVgprs: 11
; NumAgprs: 0
; TotalNumVgprs: 11
; ScratchSize: 0
; MemoryBound: 0
; FloatMode: 240
; IeeeMode: 1
; LDSByteSize: 4096 bytes/workgroup (compile time only)
; SGPRBlocks: 6
; VGPRBlocks: 1
; NumSGPRsForWavesPerEU: 50
; NumVGPRsForWavesPerEU: 11
; AccumOffset: 12
; Occupancy: 8
; WaveLimiterHint : 0
; COMPUTE_PGM_RSRC2:SCRATCH_EN: 0
; COMPUTE_PGM_RSRC2:USER_SGPR: 6
; COMPUTE_PGM_RSRC2:TRAP_HANDLER: 0
; COMPUTE_PGM_RSRC2:TGID_X_EN: 1
; COMPUTE_PGM_RSRC2:TGID_Y_EN: 0
; COMPUTE_PGM_RSRC2:TGID_Z_EN: 1
; COMPUTE_PGM_RSRC2:TIDIG_COMP_CNT: 0
; COMPUTE_PGM_RSRC3_GFX90A:ACCUM_OFFSET: 2
; COMPUTE_PGM_RSRC3_GFX90A:TG_SPLIT: 0
	.section	.text._ZL18rocblas_trtri_fillILi128EdPdEvP15_rocblas_handle13rocblas_fill_ililT1_llii,"axG",@progbits,_ZL18rocblas_trtri_fillILi128EdPdEvP15_rocblas_handle13rocblas_fill_ililT1_llii,comdat
	.globl	_ZL18rocblas_trtri_fillILi128EdPdEvP15_rocblas_handle13rocblas_fill_ililT1_llii ; -- Begin function _ZL18rocblas_trtri_fillILi128EdPdEvP15_rocblas_handle13rocblas_fill_ililT1_llii
	.p2align	8
	.type	_ZL18rocblas_trtri_fillILi128EdPdEvP15_rocblas_handle13rocblas_fill_ililT1_llii,@function
_ZL18rocblas_trtri_fillILi128EdPdEvP15_rocblas_handle13rocblas_fill_ililT1_llii: ; @_ZL18rocblas_trtri_fillILi128EdPdEvP15_rocblas_handle13rocblas_fill_ililT1_llii
; %bb.0:
	s_load_dword s1, s[4:5], 0x40
	s_load_dwordx2 s[2:3], s[4:5], 0x10
	s_mov_b32 s0, s6
	s_waitcnt lgkmcnt(0)
	s_ashr_i32 s6, s1, 31
	s_mul_i32 s8, s1, s3
	s_mul_hi_u32 s9, s1, s2
	s_mul_i32 s16, s1, s2
	s_mov_b32 s1, 0
	s_add_i32 s8, s9, s8
	s_mul_i32 s6, s6, s2
	s_lshl_b64 s[0:1], s[0:1], 7
	s_add_i32 s17, s8, s6
	v_or_b32_e32 v0, s0, v0
	v_mov_b32_e32 v1, s1
	v_cmp_gt_u64_e32 vcc, s[16:17], v[0:1]
	s_and_saveexec_b64 s[0:1], vcc
	s_cbranch_execz .LBB4_16
; %bb.1:
	v_cvt_f32_u32_e32 v5, s2
	v_cvt_f32_u32_e32 v6, s3
	s_load_dword s18, s[4:5], 0x18
	s_load_dwordx8 s[8:15], s[4:5], 0x20
	s_load_dwordx2 s[20:21], s[4:5], 0x8
	v_mov_b32_e32 v4, 0
	v_mov_b32_e32 v15, 0x260
	v_mac_f32_e32 v5, 0x4f800000, v6
	s_waitcnt lgkmcnt(0)
	s_mul_i32 s0, s7, s15
	s_mul_hi_u32 s1, s7, s14
	v_rcp_f32_e32 v5, v5
	v_cvt_f32_u32_e32 v6, s2
	s_add_i32 s1, s1, s0
	s_mul_i32 s0, s7, s14
	s_ashr_i32 s19, s18, 31
	s_lshl_b64 s[0:1], s[0:1], 3
	s_add_u32 s6, s10, s0
	s_addc_u32 s7, s11, s1
	s_lshl_b64 s[0:1], s[12:13], 3
	v_mul_f32_e32 v5, 0x5f7ffffc, v5
	v_rcp_iflag_f32_e32 v6, v6
	s_add_u32 s14, s6, s0
	v_mul_f32_e32 v7, 0x2f800000, v5
	s_addc_u32 s15, s7, s1
	s_add_i32 s0, s21, -2
	s_load_dword s6, s[4:5], 0x48
	s_load_dword s7, s[4:5], 0x54
	v_trunc_f32_e32 v7, v7
	v_cvt_f64_i32_e32 v[2:3], s0
	s_add_i32 s0, s21, -1
	v_mac_f32_e32 v5, 0xcf800000, v7
	s_mul_hi_i32 s1, s0, s21
	s_mul_i32 s0, s0, s21
	v_cvt_u32_f32_e32 v12, v5
	v_mul_f32_e32 v5, 0x4f7ffffe, v6
	s_ashr_i32 s22, s21, 31
	s_lshl_b64 s[4:5], s[0:1], 2
	v_cvt_u32_f32_e32 v13, v7
	v_cvt_u32_f32_e32 v14, v5
	s_mov_b32 s23, s21
	s_add_u32 s21, s4, -7
	s_addc_u32 s24, s5, -1
	s_lshr_b64 s[4:5], s[0:1], 1
	s_waitcnt lgkmcnt(0)
	s_and_b32 s0, s7, 0xffff
	s_mov_b32 s10, 0
	s_mul_hi_u32 s25, s0, s6
	s_mul_i32 s26, s0, s6
	s_mov_b64 s[6:7], 0
	s_brev_b32 s11, 8
	s_movk_i32 s27, 0xffe0
	v_mov_b32_e32 v16, 0xffffff80
	s_branch .LBB4_3
.LBB4_2:                                ;   in Loop: Header=BB4_3 Depth=1
	v_mov_b32_e32 v5, s25
	v_add_co_u32_e32 v0, vcc, s26, v0
	v_addc_co_u32_e32 v1, vcc, v1, v5, vcc
	v_cmp_le_u64_e32 vcc, s[16:17], v[0:1]
	s_or_b64 s[6:7], vcc, s[6:7]
	s_andn2_b64 exec, exec, s[6:7]
	s_cbranch_execz .LBB4_16
.LBB4_3:                                ; =>This Inner Loop Header: Depth=1
	v_or_b32_e32 v5, s3, v1
	v_cmp_ne_u64_e32 vcc, 0, v[4:5]
                                        ; implicit-def: $vgpr6_vgpr7
	s_and_saveexec_b64 s[0:1], vcc
	s_xor_b64 s[12:13], exec, s[0:1]
	s_cbranch_execz .LBB4_5
; %bb.4:                                ;   in Loop: Header=BB4_3 Depth=1
	s_sub_u32 s0, 0, s2
	s_subb_u32 s1, 0, s3
	v_mul_hi_u32 v6, s0, v12
	v_mul_lo_u32 v7, s0, v13
	v_mul_lo_u32 v5, s1, v12
	v_add_u32_e32 v6, v6, v7
	v_add_u32_e32 v5, v6, v5
	v_mul_lo_u32 v8, s0, v12
	v_mul_lo_u32 v7, v12, v5
	v_mul_hi_u32 v9, v12, v8
	v_mul_hi_u32 v6, v12, v5
	v_add_co_u32_e32 v7, vcc, v9, v7
	v_addc_co_u32_e32 v6, vcc, 0, v6, vcc
	v_mul_hi_u32 v10, v13, v8
	v_mul_lo_u32 v8, v13, v8
	v_add_co_u32_e32 v7, vcc, v7, v8
	v_mul_hi_u32 v9, v13, v5
	v_addc_co_u32_e32 v6, vcc, v6, v10, vcc
	v_addc_co_u32_e32 v7, vcc, 0, v9, vcc
	v_mul_lo_u32 v5, v13, v5
	v_add_co_u32_e32 v5, vcc, v6, v5
	v_addc_co_u32_e32 v6, vcc, 0, v7, vcc
	v_add_co_u32_e32 v5, vcc, v12, v5
	v_addc_co_u32_e32 v6, vcc, v13, v6, vcc
	v_mul_lo_u32 v7, s0, v6
	v_mul_hi_u32 v8, s0, v5
	v_add_u32_e32 v7, v8, v7
	v_mul_lo_u32 v8, s1, v5
	v_add_u32_e32 v7, v7, v8
	v_mul_lo_u32 v9, s0, v5
	v_mul_hi_u32 v10, v6, v9
	v_mul_lo_u32 v11, v6, v9
	v_mul_lo_u32 v18, v5, v7
	v_mul_hi_u32 v9, v5, v9
	v_mul_hi_u32 v17, v5, v7
	v_add_co_u32_e32 v9, vcc, v9, v18
	v_addc_co_u32_e32 v17, vcc, 0, v17, vcc
	v_add_co_u32_e32 v9, vcc, v9, v11
	v_mul_hi_u32 v8, v6, v7
	v_addc_co_u32_e32 v9, vcc, v17, v10, vcc
	v_addc_co_u32_e32 v8, vcc, 0, v8, vcc
	v_mul_lo_u32 v7, v6, v7
	v_add_co_u32_e32 v7, vcc, v9, v7
	v_addc_co_u32_e32 v8, vcc, 0, v8, vcc
	v_add_co_u32_e32 v5, vcc, v5, v7
	v_addc_co_u32_e32 v8, vcc, v6, v8, vcc
	v_mad_u64_u32 v[6:7], s[0:1], v0, v8, 0
	v_mul_hi_u32 v9, v0, v5
	v_add_co_u32_e32 v10, vcc, v9, v6
	v_addc_co_u32_e32 v11, vcc, 0, v7, vcc
	v_mad_u64_u32 v[6:7], s[0:1], v1, v8, 0
	v_mad_u64_u32 v[8:9], s[0:1], v1, v5, 0
	v_add_co_u32_e32 v5, vcc, v10, v8
	v_addc_co_u32_e32 v5, vcc, v11, v9, vcc
	v_addc_co_u32_e32 v7, vcc, 0, v7, vcc
	v_add_co_u32_e32 v5, vcc, v5, v6
	v_addc_co_u32_e32 v8, vcc, 0, v7, vcc
	v_mul_lo_u32 v9, s3, v5
	v_mul_lo_u32 v10, s2, v8
	v_mad_u64_u32 v[6:7], s[0:1], s2, v5, 0
	v_add3_u32 v7, v7, v10, v9
	v_sub_u32_e32 v9, v1, v7
	v_mov_b32_e32 v10, s3
	v_sub_co_u32_e32 v6, vcc, v0, v6
	v_subb_co_u32_e64 v9, s[0:1], v9, v10, vcc
	v_subrev_co_u32_e64 v10, s[0:1], s2, v6
	v_subbrev_co_u32_e64 v9, s[0:1], 0, v9, s[0:1]
	v_cmp_le_u32_e64 s[0:1], s3, v9
	v_cndmask_b32_e64 v11, 0, -1, s[0:1]
	v_cmp_le_u32_e64 s[0:1], s2, v10
	v_cndmask_b32_e64 v10, 0, -1, s[0:1]
	v_cmp_eq_u32_e64 s[0:1], s3, v9
	v_cndmask_b32_e64 v9, v11, v10, s[0:1]
	v_add_co_u32_e64 v10, s[0:1], 2, v5
	v_addc_co_u32_e64 v11, s[0:1], 0, v8, s[0:1]
	v_add_co_u32_e64 v17, s[0:1], 1, v5
	v_addc_co_u32_e64 v18, s[0:1], 0, v8, s[0:1]
	v_subb_co_u32_e32 v7, vcc, v1, v7, vcc
	v_cmp_ne_u32_e64 s[0:1], 0, v9
	v_cmp_le_u32_e32 vcc, s3, v7
	v_cndmask_b32_e64 v9, v18, v11, s[0:1]
	v_cndmask_b32_e64 v11, 0, -1, vcc
	v_cmp_le_u32_e32 vcc, s2, v6
	v_cndmask_b32_e64 v6, 0, -1, vcc
	v_cmp_eq_u32_e32 vcc, s3, v7
	v_cndmask_b32_e32 v6, v11, v6, vcc
	v_cmp_ne_u32_e32 vcc, 0, v6
	v_cndmask_b32_e64 v6, v17, v10, s[0:1]
	v_cndmask_b32_e32 v7, v8, v9, vcc
	v_cndmask_b32_e32 v6, v5, v6, vcc
.LBB4_5:                                ;   in Loop: Header=BB4_3 Depth=1
	s_andn2_saveexec_b64 s[0:1], s[12:13]
	s_cbranch_execz .LBB4_7
; %bb.6:                                ;   in Loop: Header=BB4_3 Depth=1
	s_sub_i32 s12, 0, s2
	v_mul_lo_u32 v5, s12, v14
	v_mul_hi_u32 v5, v14, v5
	v_add_u32_e32 v5, v14, v5
	v_mul_hi_u32 v5, v0, v5
	v_mul_lo_u32 v6, v5, s2
	v_sub_u32_e32 v6, v0, v6
	v_subrev_u32_e32 v7, s2, v6
	v_cmp_le_u32_e32 vcc, s2, v6
	v_cndmask_b32_e32 v6, v6, v7, vcc
	v_add_u32_e32 v7, 1, v5
	v_cndmask_b32_e32 v5, v5, v7, vcc
	v_add_u32_e32 v7, 1, v5
	v_cmp_le_u32_e32 vcc, s2, v6
	v_cndmask_b32_e32 v6, v5, v7, vcc
	v_mov_b32_e32 v7, v4
.LBB4_7:                                ;   in Loop: Header=BB4_3 Depth=1
	s_or_b64 exec, exec, s[0:1]
	v_mul_lo_u32 v5, v7, s2
	v_mul_lo_u32 v10, v6, s3
	v_mad_u64_u32 v[8:9], s[0:1], v6, s2, 0
	v_add3_u32 v5, v9, v10, v5
	v_sub_co_u32_e32 v8, vcc, v0, v8
	s_cmpk_lt_i32 s20, 0x7a
	v_subb_co_u32_e32 v9, vcc, v1, v5, vcc
	s_cbranch_scc1 .LBB4_10
; %bb.8:                                ;   in Loop: Header=BB4_3 Depth=1
	s_mov_b64 s[0:1], 0
	s_cmpk_eq_i32 s20, 0x7a
	s_mov_b64 s[12:13], 0
                                        ; implicit-def: $vgpr10_vgpr11
	s_cbranch_scc0 .LBB4_11
; %bb.9:                                ;   in Loop: Header=BB4_3 Depth=1
	v_lshlrev_b64 v[10:11], 3, v[8:9]
	v_mov_b32_e32 v5, s24
	v_sub_co_u32_e32 v17, vcc, s21, v10
	v_subb_co_u32_e32 v5, vcc, v5, v11, vcc
	v_cvt_f64_u32_e32 v[10:11], v5
	v_ldexp_f64 v[10:11], v[10:11], 32
	v_cvt_f64_u32_e32 v[18:19], v17
	v_add_f64 v[10:11], v[10:11], v[18:19]
	v_cmp_gt_f64_e32 vcc, s[10:11], v[10:11]
	v_cndmask_b32_e64 v5, 0, 1, vcc
	v_lshlrev_b32_e32 v5, 8, v5
	v_ldexp_f64 v[10:11], v[10:11], v5
	v_rsq_f64_e32 v[18:19], v[10:11]
	v_cndmask_b32_e32 v5, 0, v16, vcc
	v_cmp_class_f64_e32 vcc, v[10:11], v15
	v_mul_f64 v[20:21], v[10:11], v[18:19]
	v_mul_f64 v[18:19], v[18:19], 0.5
	v_fma_f64 v[22:23], -v[18:19], v[20:21], 0.5
	v_fmac_f64_e32 v[20:21], v[20:21], v[22:23]
	v_fma_f64 v[24:25], -v[20:21], v[20:21], v[10:11]
	v_fmac_f64_e32 v[18:19], v[18:19], v[22:23]
	v_fmac_f64_e32 v[20:21], v[24:25], v[18:19]
	v_fma_f64 v[22:23], -v[20:21], v[20:21], v[10:11]
	v_fmac_f64_e32 v[20:21], v[22:23], v[18:19]
	v_ldexp_f64 v[18:19], v[20:21], v5
	v_cndmask_b32_e32 v11, v19, v11, vcc
	v_cndmask_b32_e32 v10, v18, v10, vcc
	v_fma_f64 v[10:11], v[10:11], 0.5, -0.5
	v_floor_f64_e32 v[10:11], v[10:11]
	v_add_f64 v[10:11], v[2:3], -v[10:11]
	v_trunc_f64_e32 v[10:11], v[10:11]
	v_ldexp_f64 v[18:19], v[10:11], s27
	v_floor_f64_e32 v[18:19], v[18:19]
	v_fmac_f64_e32 v[10:11], 0xc1f00000, v[18:19]
	v_cvt_u32_f64_e32 v10, v[10:11]
	v_cvt_u32_f64_e32 v11, v[18:19]
	v_mov_b32_e32 v5, s5
	v_subrev_co_u32_e32 v18, vcc, s4, v8
	v_subb_co_u32_e32 v19, vcc, v9, v5, vcc
	v_mov_b32_e32 v5, s22
	v_sub_co_u32_e32 v17, vcc, s23, v10
	v_subb_co_u32_e32 v5, vcc, v5, v11, vcc
	v_add_co_u32_e32 v20, vcc, -1, v17
	v_addc_co_u32_e32 v21, vcc, -1, v5, vcc
	v_mul_lo_u32 v22, v21, v17
	v_mul_lo_u32 v5, v20, v5
	v_mad_u64_u32 v[20:21], s[12:13], v20, v17, 0
	v_add3_u32 v21, v21, v5, v22
	v_mul_lo_u32 v5, v7, s8
	v_mul_lo_u32 v17, v6, s9
	v_mad_u64_u32 v[22:23], s[12:13], v6, s8, 0
	v_add3_u32 v23, v23, v17, v5
	v_mul_lo_u32 v5, v10, s19
	v_mad_u64_u32 v[24:25], s[12:13], v10, s18, 0
	v_mul_lo_u32 v17, v11, s18
	v_lshlrev_b64 v[22:23], 3, v[22:23]
	v_add3_u32 v25, v25, v5, v17
	v_mov_b32_e32 v5, s15
	v_add_co_u32_e32 v17, vcc, s14, v22
	v_addc_co_u32_e32 v5, vcc, v5, v23, vcc
	v_lshlrev_b64 v[22:23], 3, v[24:25]
	v_add_co_u32_e32 v17, vcc, v17, v22
	v_addc_co_u32_e32 v5, vcc, v5, v23, vcc
	v_lshlrev_b64 v[18:19], 3, v[18:19]
	;; [unrolled: 3-line block ×4, first 2 shown]
	v_and_b32_e32 v10, -8, v10
	v_add_co_u32_e32 v10, vcc, v17, v10
	v_addc_co_u32_e32 v5, vcc, v5, v11, vcc
	v_add_co_u32_e32 v10, vcc, 8, v10
	v_addc_co_u32_e32 v11, vcc, 0, v5, vcc
	s_mov_b64 s[12:13], -1
	s_branch .LBB4_11
.LBB4_10:                               ;   in Loop: Header=BB4_3 Depth=1
	s_mov_b64 s[0:1], -1
	s_mov_b64 s[12:13], 0
                                        ; implicit-def: $vgpr10_vgpr11
.LBB4_11:                               ;   in Loop: Header=BB4_3 Depth=1
	s_and_b64 vcc, exec, s[0:1]
	s_cbranch_vccz .LBB4_14
; %bb.12:                               ;   in Loop: Header=BB4_3 Depth=1
	s_cmpk_eq_i32 s20, 0x79
                                        ; implicit-def: $vgpr10_vgpr11
	s_cbranch_scc0 .LBB4_14
; %bb.13:                               ;   in Loop: Header=BB4_3 Depth=1
	v_lshlrev_b64 v[10:11], 3, v[8:9]
	v_or_b32_e32 v5, 1, v10
	v_cvt_f64_u32_e32 v[10:11], v11
	v_ldexp_f64 v[10:11], v[10:11], 32
	v_cvt_f64_u32_e32 v[18:19], v5
	v_add_f64 v[10:11], v[10:11], v[18:19]
	v_cmp_gt_f64_e32 vcc, s[10:11], v[10:11]
	v_cndmask_b32_e64 v5, 0, 1, vcc
	v_lshlrev_b32_e32 v5, 8, v5
	v_ldexp_f64 v[10:11], v[10:11], v5
	v_rsq_f64_e32 v[18:19], v[10:11]
	v_cndmask_b32_e32 v5, 0, v16, vcc
	v_cmp_class_f64_e32 vcc, v[10:11], v15
	v_mul_lo_u32 v17, v6, s9
	v_mul_f64 v[20:21], v[10:11], v[18:19]
	v_mul_f64 v[18:19], v[18:19], 0.5
	v_fma_f64 v[22:23], -v[18:19], v[20:21], 0.5
	v_fmac_f64_e32 v[20:21], v[20:21], v[22:23]
	v_fma_f64 v[24:25], -v[20:21], v[20:21], v[10:11]
	v_fmac_f64_e32 v[18:19], v[18:19], v[22:23]
	v_fmac_f64_e32 v[20:21], v[24:25], v[18:19]
	v_fma_f64 v[22:23], -v[20:21], v[20:21], v[10:11]
	v_fmac_f64_e32 v[20:21], v[22:23], v[18:19]
	v_ldexp_f64 v[18:19], v[20:21], v5
	v_cndmask_b32_e32 v11, v19, v11, vcc
	v_cndmask_b32_e32 v10, v18, v10, vcc
	v_add_f64 v[10:11], v[10:11], -1.0
	v_mul_f64 v[10:11], v[10:11], 0.5
	v_trunc_f64_e32 v[10:11], v[10:11]
	v_ldexp_f64 v[18:19], v[10:11], s27
	v_floor_f64_e32 v[18:19], v[18:19]
	v_fmac_f64_e32 v[10:11], 0xc1f00000, v[18:19]
	v_cvt_u32_f64_e32 v10, v[10:11]
	v_cvt_u32_f64_e32 v11, v[18:19]
	v_mad_u64_u32 v[18:19], s[0:1], v10, v10, v[10:11]
	v_mul_lo_u32 v5, v10, v11
	v_add3_u32 v19, v5, v19, v5
	v_lshrrev_b64 v[18:19], 1, v[18:19]
	v_sub_co_u32_e32 v8, vcc, v8, v18
	v_mul_lo_u32 v5, v7, s8
	v_mad_u64_u32 v[6:7], s[0:1], v6, s8, 0
	v_subb_co_u32_e32 v9, vcc, v9, v19, vcc
	v_add3_u32 v7, v7, v17, v5
	v_pk_mov_b32 v[18:19], s[18:19], s[18:19] op_sel:[0,1]
	v_mul_lo_u32 v5, s19, v10
	v_mad_u64_u32 v[18:19], s[0:1], s18, v10, v[18:19]
	v_mul_lo_u32 v10, s18, v11
	v_lshlrev_b64 v[6:7], 3, v[6:7]
	v_add3_u32 v19, v5, v19, v10
	v_mov_b32_e32 v5, s15
	v_add_co_u32_e32 v10, vcc, s14, v6
	v_addc_co_u32_e32 v5, vcc, v5, v7, vcc
	v_lshlrev_b64 v[6:7], 3, v[18:19]
	v_add_co_u32_e32 v10, vcc, v10, v6
	v_addc_co_u32_e32 v5, vcc, v5, v7, vcc
	v_lshlrev_b64 v[6:7], 3, v[8:9]
	v_add_co_u32_e32 v10, vcc, v10, v6
	v_addc_co_u32_e32 v11, vcc, v5, v7, vcc
	s_mov_b64 s[12:13], -1
.LBB4_14:                               ;   in Loop: Header=BB4_3 Depth=1
	s_and_b64 vcc, exec, s[12:13]
	s_cbranch_vccz .LBB4_2
; %bb.15:                               ;   in Loop: Header=BB4_3 Depth=1
	v_mov_b32_e32 v5, v4
	global_store_dwordx2 v[10:11], v[4:5], off
	s_branch .LBB4_2
.LBB4_16:
	s_endpgm
	.section	.rodata,"a",@progbits
	.p2align	6, 0x0
	.amdhsa_kernel _ZL18rocblas_trtri_fillILi128EdPdEvP15_rocblas_handle13rocblas_fill_ililT1_llii
		.amdhsa_group_segment_fixed_size 0
		.amdhsa_private_segment_fixed_size 0
		.amdhsa_kernarg_size 328
		.amdhsa_user_sgpr_count 6
		.amdhsa_user_sgpr_private_segment_buffer 1
		.amdhsa_user_sgpr_dispatch_ptr 0
		.amdhsa_user_sgpr_queue_ptr 0
		.amdhsa_user_sgpr_kernarg_segment_ptr 1
		.amdhsa_user_sgpr_dispatch_id 0
		.amdhsa_user_sgpr_flat_scratch_init 0
		.amdhsa_user_sgpr_kernarg_preload_length 0
		.amdhsa_user_sgpr_kernarg_preload_offset 0
		.amdhsa_user_sgpr_private_segment_size 0
		.amdhsa_uses_dynamic_stack 0
		.amdhsa_system_sgpr_private_segment_wavefront_offset 0
		.amdhsa_system_sgpr_workgroup_id_x 1
		.amdhsa_system_sgpr_workgroup_id_y 0
		.amdhsa_system_sgpr_workgroup_id_z 1
		.amdhsa_system_sgpr_workgroup_info 0
		.amdhsa_system_vgpr_workitem_id 0
		.amdhsa_next_free_vgpr 26
		.amdhsa_next_free_sgpr 28
		.amdhsa_accum_offset 28
		.amdhsa_reserve_vcc 1
		.amdhsa_reserve_flat_scratch 0
		.amdhsa_float_round_mode_32 0
		.amdhsa_float_round_mode_16_64 0
		.amdhsa_float_denorm_mode_32 3
		.amdhsa_float_denorm_mode_16_64 3
		.amdhsa_dx10_clamp 1
		.amdhsa_ieee_mode 1
		.amdhsa_fp16_overflow 0
		.amdhsa_tg_split 0
		.amdhsa_exception_fp_ieee_invalid_op 0
		.amdhsa_exception_fp_denorm_src 0
		.amdhsa_exception_fp_ieee_div_zero 0
		.amdhsa_exception_fp_ieee_overflow 0
		.amdhsa_exception_fp_ieee_underflow 0
		.amdhsa_exception_fp_ieee_inexact 0
		.amdhsa_exception_int_div_zero 0
	.end_amdhsa_kernel
	.section	.text._ZL18rocblas_trtri_fillILi128EdPdEvP15_rocblas_handle13rocblas_fill_ililT1_llii,"axG",@progbits,_ZL18rocblas_trtri_fillILi128EdPdEvP15_rocblas_handle13rocblas_fill_ililT1_llii,comdat
.Lfunc_end4:
	.size	_ZL18rocblas_trtri_fillILi128EdPdEvP15_rocblas_handle13rocblas_fill_ililT1_llii, .Lfunc_end4-_ZL18rocblas_trtri_fillILi128EdPdEvP15_rocblas_handle13rocblas_fill_ililT1_llii
                                        ; -- End function
	.section	.AMDGPU.csdata,"",@progbits
; Kernel info:
; codeLenInByte = 1952
; NumSgprs: 32
; NumVgprs: 26
; NumAgprs: 0
; TotalNumVgprs: 26
; ScratchSize: 0
; MemoryBound: 0
; FloatMode: 240
; IeeeMode: 1
; LDSByteSize: 0 bytes/workgroup (compile time only)
; SGPRBlocks: 3
; VGPRBlocks: 3
; NumSGPRsForWavesPerEU: 32
; NumVGPRsForWavesPerEU: 26
; AccumOffset: 28
; Occupancy: 8
; WaveLimiterHint : 0
; COMPUTE_PGM_RSRC2:SCRATCH_EN: 0
; COMPUTE_PGM_RSRC2:USER_SGPR: 6
; COMPUTE_PGM_RSRC2:TRAP_HANDLER: 0
; COMPUTE_PGM_RSRC2:TGID_X_EN: 1
; COMPUTE_PGM_RSRC2:TGID_Y_EN: 0
; COMPUTE_PGM_RSRC2:TGID_Z_EN: 1
; COMPUTE_PGM_RSRC2:TIDIG_COMP_CNT: 0
; COMPUTE_PGM_RSRC3_GFX90A:ACCUM_OFFSET: 6
; COMPUTE_PGM_RSRC3_GFX90A:TG_SPLIT: 0
	.section	.text._ZL26rocblas_trtri_small_kernelILi16EdPKdPdEv13rocblas_fill_17rocblas_diagonal_iT1_lillT2_lilli,"axG",@progbits,_ZL26rocblas_trtri_small_kernelILi16EdPKdPdEv13rocblas_fill_17rocblas_diagonal_iT1_lillT2_lilli,comdat
	.globl	_ZL26rocblas_trtri_small_kernelILi16EdPKdPdEv13rocblas_fill_17rocblas_diagonal_iT1_lillT2_lilli ; -- Begin function _ZL26rocblas_trtri_small_kernelILi16EdPKdPdEv13rocblas_fill_17rocblas_diagonal_iT1_lillT2_lilli
	.p2align	8
	.type	_ZL26rocblas_trtri_small_kernelILi16EdPKdPdEv13rocblas_fill_17rocblas_diagonal_iT1_lillT2_lilli,@function
_ZL26rocblas_trtri_small_kernelILi16EdPKdPdEv13rocblas_fill_17rocblas_diagonal_iT1_lillT2_lilli: ; @_ZL26rocblas_trtri_small_kernelILi16EdPKdPdEv13rocblas_fill_17rocblas_diagonal_iT1_lillT2_lilli
; %bb.0:
	s_load_dwordx4 s[16:19], s[4:5], 0x0
	s_waitcnt lgkmcnt(0)
	s_cmp_lt_i32 s18, 1
	s_cbranch_scc1 .LBB5_46
; %bb.1:
	s_load_dwordx8 s[8:15], s[4:5], 0x28
	v_cmp_le_u32_e64 s[2:3], s18, v0
	v_cmp_gt_u32_e64 s[0:1], s18, v0
	s_and_saveexec_b64 s[24:25], s[0:1]
	s_cbranch_execz .LBB5_14
; %bb.2:
	s_load_dwordx4 s[20:23], s[4:5], 0x10
	s_load_dword s26, s[4:5], 0x20
	s_waitcnt lgkmcnt(0)
	s_mul_i32 s9, s7, s9
	s_mul_hi_u32 s19, s7, s8
	s_add_i32 s9, s19, s9
	s_mul_i32 s11, s6, s11
	s_mul_hi_u32 s19, s6, s10
	s_add_i32 s11, s19, s11
	s_mul_i32 s8, s7, s8
	s_mul_i32 s10, s6, s10
	s_cmpk_lg_i32 s16, 0x7a
	s_mov_b64 s[28:29], -1
	s_cbranch_scc0 .LBB5_6
; %bb.3:
	s_ashr_i32 s27, s26, 31
	s_lshl_b32 s19, s18, 3
	s_ashr_i32 s28, s18, 31
	s_add_u32 s30, s18, -1
	s_addc_u32 s28, s28, -1
	s_mul_i32 s29, s30, s27
	s_mul_hi_u32 s31, s30, s26
	s_add_i32 s29, s31, s29
	s_mul_i32 s28, s28, s26
	s_add_i32 s29, s29, s28
	s_mul_i32 s28, s30, s26
	s_lshl_b64 s[28:29], s[28:29], 3
	s_lshl_b64 s[30:31], s[10:11], 3
	s_add_u32 s30, s28, s30
	s_addc_u32 s31, s29, s31
	s_lshl_b64 s[28:29], s[8:9], 3
	s_add_u32 s30, s30, s28
	s_addc_u32 s31, s31, s29
	;; [unrolled: 3-line block ×3, first 2 shown]
	s_add_u32 s28, s20, s28
	s_addc_u32 s29, s21, s29
	s_lshl_b64 s[30:31], s[26:27], 3
	v_lshlrev_b32_e32 v2, 3, v0
	s_sub_u32 s27, 0, s30
	v_sub_u32_e32 v1, s19, v2
	v_mov_b32_e32 v3, s29
	v_add_co_u32_e32 v2, vcc, s28, v2
	s_subb_u32 s30, 0, s31
	v_add_u32_e32 v1, -8, v1
	v_addc_co_u32_e32 v3, vcc, 0, v3, vcc
	s_mov_b64 s[28:29], 0
	v_mov_b32_e32 v4, s30
	s_mov_b32 s30, s18
.LBB5_4:                                ; =>This Inner Loop Header: Depth=1
	global_load_dwordx2 v[6:7], v[2:3], off
	v_add_co_u32_e32 v2, vcc, s27, v2
	s_add_i32 s30, s30, -1
	v_addc_co_u32_e32 v3, vcc, v3, v4, vcc
	v_cmp_le_i32_e32 vcc, s30, v0
	s_or_b64 s[28:29], vcc, s[28:29]
	s_waitcnt vmcnt(0)
	ds_write_b64 v1, v[6:7]
	v_add_u32_e32 v1, s19, v1
	s_andn2_b64 exec, exec, s[28:29]
	s_cbranch_execnz .LBB5_4
; %bb.5:
	s_or_b64 exec, exec, s[28:29]
	s_mov_b64 s[28:29], 0
.LBB5_6:
	s_and_b64 vcc, exec, s[28:29]
	s_cbranch_vccz .LBB5_14
; %bb.7:
	v_mov_b32_e32 v1, 0
	s_ashr_i32 s27, s26, 31
	v_add_u32_e32 v4, 1, v0
	v_cmp_lt_u32_e32 vcc, 2, v0
	s_and_saveexec_b64 s[28:29], vcc
	s_cbranch_execz .LBB5_11
; %bb.8:
	s_lshl_b64 s[30:31], s[8:9], 3
	s_add_u32 s19, s20, s30
	s_addc_u32 s33, s21, s31
	s_lshl_b64 s[30:31], s[22:23], 3
	s_add_u32 s19, s19, s30
	s_addc_u32 s33, s33, s31
	;; [unrolled: 3-line block ×3, first 2 shown]
	v_lshlrev_b32_e32 v5, 3, v0
	v_mov_b32_e32 v1, s30
	v_add_co_u32_e32 v2, vcc, s19, v5
	s_mul_hi_i32 s44, s26, 24
	s_lshl_b64 s[30:31], s[26:27], 5
	s_lshl_b64 s[34:35], s[26:27], 4
	;; [unrolled: 1-line block ×3, first 2 shown]
	v_addc_co_u32_e32 v3, vcc, 0, v1, vcc
	v_and_b32_e32 v1, 28, v4
	s_mul_i32 s19, s26, 24
	s_lshl_b32 s33, s18, 3
	s_lshl_b32 s40, s18, 5
	;; [unrolled: 1-line block ×3, first 2 shown]
	s_mul_i32 s42, s18, 24
	s_mov_b32 s43, 0
	s_mov_b64 s[38:39], 0
	v_mov_b32_e32 v6, s37
	v_mov_b32_e32 v7, s35
	v_mov_b32_e32 v8, s44
	v_mov_b32_e32 v9, s31
.LBB5_9:                                ; =>This Inner Loop Header: Depth=1
	v_add_co_u32_e32 v12, vcc, s36, v2
	v_addc_co_u32_e32 v13, vcc, v3, v6, vcc
	v_add_co_u32_e32 v14, vcc, s34, v2
	v_addc_co_u32_e32 v15, vcc, v3, v7, vcc
	global_load_dwordx2 v[10:11], v[2:3], off
	v_add_co_u32_e32 v16, vcc, s19, v2
	v_addc_co_u32_e32 v17, vcc, v3, v8, vcc
	global_load_dwordx2 v[18:19], v[12:13], off
	global_load_dwordx2 v[20:21], v[14:15], off
	;; [unrolled: 1-line block ×3, first 2 shown]
	v_add_co_u32_e32 v2, vcc, s30, v2
	s_add_i32 s43, s43, 4
	v_addc_co_u32_e32 v3, vcc, v3, v9, vcc
	v_cmp_eq_u32_e32 vcc, s43, v1
	v_add_u32_e32 v12, s33, v5
	v_add_u32_e32 v13, s41, v5
	;; [unrolled: 1-line block ×3, first 2 shown]
	s_or_b64 s[38:39], vcc, s[38:39]
	s_waitcnt vmcnt(3)
	ds_write_b64 v5, v[10:11]
	v_add_u32_e32 v5, s40, v5
	s_waitcnt vmcnt(2)
	ds_write_b64 v12, v[18:19]
	s_waitcnt vmcnt(1)
	ds_write_b64 v13, v[20:21]
	;; [unrolled: 2-line block ×3, first 2 shown]
	s_andn2_b64 exec, exec, s[38:39]
	s_cbranch_execnz .LBB5_9
; %bb.10:
	s_or_b64 exec, exec, s[38:39]
.LBB5_11:
	s_or_b64 exec, exec, s[28:29]
	v_and_b32_e32 v4, 3, v4
	v_cmp_ne_u32_e32 vcc, 0, v4
	s_and_b64 exec, exec, vcc
	s_cbranch_execz .LBB5_14
; %bb.12:
	s_lshl_b32 s19, s18, 3
	s_lshl_b64 s[10:11], s[10:11], 3
	s_lshl_b64 s[8:9], s[8:9], 3
	v_mul_lo_u32 v2, v1, s18
	s_add_u32 s10, s10, s8
	v_add_lshl_u32 v5, v0, v2, 3
	s_addc_u32 s11, s11, s9
	v_mad_i64_i32 v[2:3], s[8:9], s26, v1, 0
	s_lshl_b64 s[8:9], s[22:23], 3
	s_add_u32 s8, s8, s10
	v_lshlrev_b64 v[2:3], 3, v[2:3]
	s_addc_u32 s9, s9, s11
	v_mov_b32_e32 v1, s9
	v_add_co_u32_e32 v2, vcc, s8, v2
	v_addc_co_u32_e32 v1, vcc, v1, v3, vcc
	v_lshlrev_b32_e32 v3, 3, v0
	v_add_co_u32_e32 v2, vcc, v2, v3
	v_addc_co_u32_e32 v1, vcc, 0, v1, vcc
	v_mov_b32_e32 v3, s21
	v_add_co_u32_e32 v2, vcc, s20, v2
	s_lshl_b64 s[8:9], s[26:27], 3
	v_addc_co_u32_e32 v3, vcc, v3, v1, vcc
	s_mov_b64 s[10:11], 0
	v_mov_b32_e32 v1, s9
.LBB5_13:                               ; =>This Inner Loop Header: Depth=1
	global_load_dwordx2 v[6:7], v[2:3], off
	v_add_co_u32_e32 v2, vcc, s8, v2
	v_addc_co_u32_e32 v3, vcc, v3, v1, vcc
	v_add_u32_e32 v4, -1, v4
	v_cmp_eq_u32_e32 vcc, 0, v4
	s_or_b64 s[10:11], vcc, s[10:11]
	s_waitcnt vmcnt(0)
	ds_write_b64 v5, v[6:7]
	v_add_u32_e32 v5, s19, v5
	s_andn2_b64 exec, exec, s[10:11]
	s_cbranch_execnz .LBB5_13
.LBB5_14:
	s_or_b64 exec, exec, s[24:25]
	s_waitcnt lgkmcnt(0)
	; wave barrier
	s_waitcnt lgkmcnt(0)
                                        ; implicit-def: $vgpr2
	s_waitcnt lgkmcnt(0)
	s_and_saveexec_b64 s[8:9], s[2:3]
	s_xor_b64 s[2:3], exec, s[8:9]
; %bb.15:
	v_mad_u64_u32 v[2:3], s[8:9], v0, s18, v[0:1]
; %bb.16:
	s_andn2_saveexec_b64 s[2:3], s[2:3]
	s_cbranch_execz .LBB5_22
; %bb.17:
	v_mad_u64_u32 v[2:3], s[8:9], v0, s18, v[0:1]
	v_mov_b32_e32 v6, 0
	s_cmpk_eq_i32 s17, 0x84
	v_lshlrev_b32_e32 v1, 3, v2
	v_mov_b32_e32 v7, 0x3ff00000
	s_cbranch_scc1 .LBB5_21
; %bb.18:
	ds_read_b64 v[4:5], v1
	v_mov_b32_e32 v6, 0
	v_mov_b32_e32 v7, 0x3ff00000
	s_waitcnt lgkmcnt(0)
	v_cmp_neq_f64_e32 vcc, 0, v[4:5]
	s_and_saveexec_b64 s[8:9], vcc
; %bb.19:
	v_div_scale_f64 v[6:7], s[10:11], v[4:5], v[4:5], 1.0
	v_rcp_f64_e32 v[8:9], v[6:7]
	v_div_scale_f64 v[10:11], vcc, 1.0, v[4:5], 1.0
	v_fma_f64 v[12:13], -v[6:7], v[8:9], 1.0
	v_fmac_f64_e32 v[8:9], v[8:9], v[12:13]
	v_fma_f64 v[12:13], -v[6:7], v[8:9], 1.0
	v_fmac_f64_e32 v[8:9], v[8:9], v[12:13]
	v_mul_f64 v[12:13], v[10:11], v[8:9]
	v_fma_f64 v[6:7], -v[6:7], v[12:13], v[10:11]
	v_div_fmas_f64 v[6:7], v[6:7], v[8:9], v[12:13]
	v_div_fixup_f64 v[6:7], v[6:7], v[4:5], 1.0
; %bb.20:
	s_or_b64 exec, exec, s[8:9]
.LBB5_21:
	ds_write_b64 v1, v[6:7]
.LBB5_22:
	s_or_b64 exec, exec, s[2:3]
	s_lshl_b32 s19, s18, 3
	v_lshlrev_b32_e32 v1, 3, v2
	s_mov_b32 s8, 8
	s_add_i32 s9, s19, 8
	v_add_lshl_u32 v4, v0, s18, 3
	s_mov_b32 s10, 0
	s_waitcnt lgkmcnt(0)
	; wave barrier
	s_waitcnt lgkmcnt(0)
	s_branch .LBB5_24
.LBB5_23:                               ;   in Loop: Header=BB5_24 Depth=1
	s_add_i32 s8, s8, s9
	s_cmp_eq_u32 s10, s18
	v_add_u32_e32 v4, s19, v4
	s_waitcnt lgkmcnt(0)
	; wave barrier
	s_cbranch_scc1 .LBB5_33
.LBB5_24:                               ; =>This Loop Header: Depth=1
                                        ;     Child Loop BB5_29 Depth 2
	s_mul_i32 s11, s10, s18
	v_cmp_lt_u32_e32 vcc, s10, v0
	v_pk_mov_b32 v[2:3], 0, 0
	v_add_lshl_u32 v5, s11, v0, 3
	s_and_saveexec_b64 s[2:3], vcc
	s_cbranch_execz .LBB5_26
; %bb.25:                               ;   in Loop: Header=BB5_24 Depth=1
	s_add_i32 s11, s11, s10
	s_lshl_b32 s11, s11, 3
	v_mov_b32_e32 v6, s11
	ds_read_b64 v[2:3], v5
	ds_read_b64 v[6:7], v6
	s_waitcnt lgkmcnt(0)
	v_fma_f64 v[2:3], v[2:3], v[6:7], 0
.LBB5_26:                               ;   in Loop: Header=BB5_24 Depth=1
	s_or_b64 exec, exec, s[2:3]
	s_add_i32 s10, s10, 1
	s_cmp_ge_i32 s10, s18
	s_waitcnt lgkmcnt(0)
	; wave barrier
	s_cbranch_scc1 .LBB5_23
; %bb.27:                               ;   in Loop: Header=BB5_24 Depth=1
	v_mov_b32_e32 v6, v4
	s_mov_b32 s11, s8
	s_mov_b32 s17, s10
	s_branch .LBB5_29
.LBB5_28:                               ;   in Loop: Header=BB5_29 Depth=2
	s_or_b64 exec, exec, s[2:3]
	s_add_i32 s17, s17, 1
	s_add_i32 s11, s11, 8
	s_cmp_ge_i32 s17, s18
	v_add_u32_e32 v6, s19, v6
	s_waitcnt lgkmcnt(0)
	; wave barrier
	s_cbranch_scc1 .LBB5_23
.LBB5_29:                               ;   Parent Loop BB5_24 Depth=1
                                        ; =>  This Inner Loop Header: Depth=2
	v_cmp_eq_u32_e32 vcc, s17, v0
	s_and_saveexec_b64 s[2:3], vcc
	s_cbranch_execz .LBB5_31
; %bb.30:                               ;   in Loop: Header=BB5_29 Depth=2
	ds_read_b64 v[8:9], v1
	v_add_f64 v[10:11], -v[2:3], 0
	s_waitcnt lgkmcnt(0)
	v_mul_f64 v[8:9], v[10:11], v[8:9]
	ds_write_b64 v5, v[8:9]
.LBB5_31:                               ;   in Loop: Header=BB5_29 Depth=2
	s_or_b64 exec, exec, s[2:3]
	v_cmp_lt_u32_e32 vcc, s17, v0
	s_waitcnt lgkmcnt(0)
	; wave barrier
	s_waitcnt lgkmcnt(0)
	s_and_saveexec_b64 s[2:3], vcc
	s_cbranch_execz .LBB5_28
; %bb.32:                               ;   in Loop: Header=BB5_29 Depth=2
	v_mov_b32_e32 v7, s11
	ds_read_b64 v[8:9], v6
	ds_read_b64 v[10:11], v7
	s_waitcnt lgkmcnt(0)
	v_fmac_f64_e32 v[2:3], v[8:9], v[10:11]
	s_branch .LBB5_28
.LBB5_33:
	s_and_saveexec_b64 s[2:3], s[0:1]
	s_cbranch_execz .LBB5_46
; %bb.34:
	s_load_dwordx4 s[8:11], s[4:5], 0x50
	s_load_dword s0, s[4:5], 0x48
	v_lshlrev_b32_e32 v1, 3, v0
	s_waitcnt lgkmcnt(0)
	s_mul_i32 s1, s7, s9
	s_mul_hi_u32 s3, s7, s8
	s_mul_i32 s4, s6, s11
	s_add_i32 s3, s3, s1
	s_mul_hi_u32 s1, s6, s10
	s_add_i32 s5, s1, s4
	s_mul_i32 s2, s7, s8
	s_mul_i32 s4, s6, s10
	s_mov_b64 s[6:7], -1
	s_cmpk_lg_i32 s16, 0x7a
	s_cbranch_scc0 .LBB5_38
; %bb.35:
	s_add_i32 s10, s18, -1
	s_ashr_i32 s1, s0, 31
	s_lshl_b64 s[6:7], s[4:5], 3
	s_lshl_b64 s[8:9], s[2:3], 3
	s_add_u32 s8, s6, s8
	s_addc_u32 s9, s7, s9
	s_mul_i32 s6, s1, s10
	s_mul_hi_u32 s7, s0, s10
	s_add_i32 s7, s7, s6
	s_mul_i32 s6, s0, s10
	s_lshl_b64 s[6:7], s[6:7], 3
	s_add_u32 s8, s8, s6
	s_addc_u32 s9, s9, s7
	s_lshl_b64 s[6:7], s[14:15], 3
	s_add_u32 s6, s8, s6
	s_addc_u32 s7, s9, s7
	s_add_u32 s6, s12, s6
	s_addc_u32 s7, s13, s7
	s_lshl_b64 s[8:9], s[0:1], 3
	v_lshlrev_b32_e32 v4, 3, v0
	s_sub_u32 s1, 0, s8
	v_mov_b32_e32 v3, s7
	v_add_co_u32_e32 v2, vcc, s6, v4
	s_subb_u32 s8, 0, s9
	v_sub_u32_e32 v4, s19, v4
	v_addc_co_u32_e32 v3, vcc, 0, v3, vcc
	s_mov_b64 s[6:7], 0
	v_add_u32_e32 v4, -8, v4
	v_mov_b32_e32 v5, s8
	s_mov_b32 s8, s18
.LBB5_36:                               ; =>This Inner Loop Header: Depth=1
	ds_read_b64 v[6:7], v4
	s_add_i32 s8, s8, -1
	v_cmp_le_i32_e32 vcc, s8, v0
	s_or_b64 s[6:7], vcc, s[6:7]
	v_add_u32_e32 v4, s19, v4
	s_waitcnt lgkmcnt(0)
	global_store_dwordx2 v[2:3], v[6:7], off
	v_add_co_u32_e32 v2, vcc, s1, v2
	v_addc_co_u32_e32 v3, vcc, v3, v5, vcc
	s_andn2_b64 exec, exec, s[6:7]
	s_cbranch_execnz .LBB5_36
; %bb.37:
	s_or_b64 exec, exec, s[6:7]
	s_mov_b64 s[6:7], 0
.LBB5_38:
	s_and_b64 vcc, exec, s[6:7]
	s_cbranch_vccz .LBB5_46
; %bb.39:
	v_mov_b32_e32 v4, 0
	s_ashr_i32 s1, s0, 31
	v_add_u32_e32 v5, 1, v0
	v_cmp_lt_u32_e32 vcc, 2, v0
	s_and_saveexec_b64 s[6:7], vcc
	s_cbranch_execz .LBB5_43
; %bb.40:
	s_lshl_b64 s[8:9], s[2:3], 3
	s_add_u32 s10, s12, s8
	s_addc_u32 s11, s13, s9
	s_lshl_b64 s[8:9], s[14:15], 3
	s_add_u32 s10, s10, s8
	s_addc_u32 s11, s11, s9
	;; [unrolled: 3-line block ×3, first 2 shown]
	v_mov_b32_e32 v3, s9
	v_add_co_u32_e32 v2, vcc, s8, v1
	s_mul_hi_i32 s27, s0, 24
	s_lshl_b64 s[8:9], s[0:1], 5
	s_lshl_b64 s[10:11], s[0:1], 4
	;; [unrolled: 1-line block ×3, first 2 shown]
	v_addc_co_u32_e32 v3, vcc, 0, v3, vcc
	v_and_b32_e32 v4, 28, v5
	s_mul_i32 s22, s0, 24
	s_lshl_b32 s23, s18, 5
	s_lshl_b32 s24, s18, 4
	s_mul_i32 s25, s18, 24
	s_mov_b32 s26, 0
	s_mov_b64 s[20:21], 0
	v_mov_b32_e32 v6, s17
	v_mov_b32_e32 v7, s11
	;; [unrolled: 1-line block ×5, first 2 shown]
.LBB5_41:                               ; =>This Inner Loop Header: Depth=1
	v_add_co_u32_e32 v14, vcc, s16, v2
	v_addc_co_u32_e32 v15, vcc, v3, v6, vcc
	ds_read_b64 v[12:13], v10
	v_add_co_u32_e32 v16, vcc, s10, v2
	v_add_u32_e32 v11, s19, v10
	v_add_u32_e32 v22, s24, v10
	v_addc_co_u32_e32 v17, vcc, v3, v7, vcc
	v_add_u32_e32 v24, s25, v10
	v_add_co_u32_e32 v18, vcc, s22, v2
	ds_read_b64 v[20:21], v11
	ds_read_b64 v[22:23], v22
	;; [unrolled: 1-line block ×3, first 2 shown]
	v_addc_co_u32_e32 v19, vcc, v3, v8, vcc
	s_add_i32 s26, s26, 4
	v_cmp_eq_u32_e32 vcc, s26, v4
	s_or_b64 s[20:21], vcc, s[20:21]
	s_waitcnt lgkmcnt(3)
	global_store_dwordx2 v[2:3], v[12:13], off
	v_add_co_u32_e32 v2, vcc, s8, v2
	v_add_u32_e32 v10, s23, v10
	v_addc_co_u32_e32 v3, vcc, v3, v9, vcc
	s_waitcnt lgkmcnt(2)
	global_store_dwordx2 v[14:15], v[20:21], off
	s_waitcnt lgkmcnt(1)
	global_store_dwordx2 v[16:17], v[22:23], off
	s_waitcnt lgkmcnt(0)
	global_store_dwordx2 v[18:19], v[24:25], off
	s_andn2_b64 exec, exec, s[20:21]
	s_cbranch_execnz .LBB5_41
; %bb.42:
	s_or_b64 exec, exec, s[20:21]
.LBB5_43:
	s_or_b64 exec, exec, s[6:7]
	v_and_b32_e32 v5, 3, v5
	v_cmp_ne_u32_e32 vcc, 0, v5
	s_and_b64 exec, exec, vcc
	s_cbranch_execz .LBB5_46
; %bb.44:
	s_lshl_b64 s[4:5], s[4:5], 3
	s_lshl_b64 s[2:3], s[2:3], 3
	s_add_u32 s4, s4, s2
	s_addc_u32 s5, s5, s3
	v_mad_i64_i32 v[2:3], s[2:3], s0, v4, 0
	s_lshl_b64 s[2:3], s[14:15], 3
	s_add_u32 s2, s2, s4
	v_lshlrev_b64 v[2:3], 3, v[2:3]
	s_addc_u32 s3, s3, s5
	v_mov_b32_e32 v6, s3
	v_add_co_u32_e32 v2, vcc, s2, v2
	v_addc_co_u32_e32 v3, vcc, v6, v3, vcc
	v_add_co_u32_e32 v1, vcc, v2, v1
	v_addc_co_u32_e32 v3, vcc, 0, v3, vcc
	v_mov_b32_e32 v6, s13
	v_add_co_u32_e32 v2, vcc, s12, v1
	s_lshl_b64 s[0:1], s[0:1], 3
	v_mul_lo_u32 v1, v4, s18
	v_addc_co_u32_e32 v3, vcc, v6, v3, vcc
	v_add_lshl_u32 v0, v0, v1, 3
	s_mov_b64 s[2:3], 0
	v_mov_b32_e32 v1, s1
.LBB5_45:                               ; =>This Inner Loop Header: Depth=1
	ds_read_b64 v[6:7], v0
	v_add_u32_e32 v5, -1, v5
	v_cmp_eq_u32_e32 vcc, 0, v5
	s_or_b64 s[2:3], vcc, s[2:3]
	v_add_u32_e32 v0, s19, v0
	s_waitcnt lgkmcnt(0)
	global_store_dwordx2 v[2:3], v[6:7], off
	v_add_co_u32_e32 v2, vcc, s0, v2
	v_addc_co_u32_e32 v3, vcc, v3, v1, vcc
	s_andn2_b64 exec, exec, s[2:3]
	s_cbranch_execnz .LBB5_45
.LBB5_46:
	s_endpgm
	.section	.rodata,"a",@progbits
	.p2align	6, 0x0
	.amdhsa_kernel _ZL26rocblas_trtri_small_kernelILi16EdPKdPdEv13rocblas_fill_17rocblas_diagonal_iT1_lillT2_lilli
		.amdhsa_group_segment_fixed_size 2048
		.amdhsa_private_segment_fixed_size 0
		.amdhsa_kernarg_size 100
		.amdhsa_user_sgpr_count 6
		.amdhsa_user_sgpr_private_segment_buffer 1
		.amdhsa_user_sgpr_dispatch_ptr 0
		.amdhsa_user_sgpr_queue_ptr 0
		.amdhsa_user_sgpr_kernarg_segment_ptr 1
		.amdhsa_user_sgpr_dispatch_id 0
		.amdhsa_user_sgpr_flat_scratch_init 0
		.amdhsa_user_sgpr_kernarg_preload_length 0
		.amdhsa_user_sgpr_kernarg_preload_offset 0
		.amdhsa_user_sgpr_private_segment_size 0
		.amdhsa_uses_dynamic_stack 0
		.amdhsa_system_sgpr_private_segment_wavefront_offset 0
		.amdhsa_system_sgpr_workgroup_id_x 1
		.amdhsa_system_sgpr_workgroup_id_y 0
		.amdhsa_system_sgpr_workgroup_id_z 1
		.amdhsa_system_sgpr_workgroup_info 0
		.amdhsa_system_vgpr_workitem_id 0
		.amdhsa_next_free_vgpr 26
		.amdhsa_next_free_sgpr 45
		.amdhsa_accum_offset 28
		.amdhsa_reserve_vcc 1
		.amdhsa_reserve_flat_scratch 0
		.amdhsa_float_round_mode_32 0
		.amdhsa_float_round_mode_16_64 0
		.amdhsa_float_denorm_mode_32 3
		.amdhsa_float_denorm_mode_16_64 3
		.amdhsa_dx10_clamp 1
		.amdhsa_ieee_mode 1
		.amdhsa_fp16_overflow 0
		.amdhsa_tg_split 0
		.amdhsa_exception_fp_ieee_invalid_op 0
		.amdhsa_exception_fp_denorm_src 0
		.amdhsa_exception_fp_ieee_div_zero 0
		.amdhsa_exception_fp_ieee_overflow 0
		.amdhsa_exception_fp_ieee_underflow 0
		.amdhsa_exception_fp_ieee_inexact 0
		.amdhsa_exception_int_div_zero 0
	.end_amdhsa_kernel
	.section	.text._ZL26rocblas_trtri_small_kernelILi16EdPKdPdEv13rocblas_fill_17rocblas_diagonal_iT1_lillT2_lilli,"axG",@progbits,_ZL26rocblas_trtri_small_kernelILi16EdPKdPdEv13rocblas_fill_17rocblas_diagonal_iT1_lillT2_lilli,comdat
.Lfunc_end5:
	.size	_ZL26rocblas_trtri_small_kernelILi16EdPKdPdEv13rocblas_fill_17rocblas_diagonal_iT1_lillT2_lilli, .Lfunc_end5-_ZL26rocblas_trtri_small_kernelILi16EdPKdPdEv13rocblas_fill_17rocblas_diagonal_iT1_lillT2_lilli
                                        ; -- End function
	.section	.AMDGPU.csdata,"",@progbits
; Kernel info:
; codeLenInByte = 2028
; NumSgprs: 49
; NumVgprs: 26
; NumAgprs: 0
; TotalNumVgprs: 26
; ScratchSize: 0
; MemoryBound: 0
; FloatMode: 240
; IeeeMode: 1
; LDSByteSize: 2048 bytes/workgroup (compile time only)
; SGPRBlocks: 6
; VGPRBlocks: 3
; NumSGPRsForWavesPerEU: 49
; NumVGPRsForWavesPerEU: 26
; AccumOffset: 28
; Occupancy: 8
; WaveLimiterHint : 0
; COMPUTE_PGM_RSRC2:SCRATCH_EN: 0
; COMPUTE_PGM_RSRC2:USER_SGPR: 6
; COMPUTE_PGM_RSRC2:TRAP_HANDLER: 0
; COMPUTE_PGM_RSRC2:TGID_X_EN: 1
; COMPUTE_PGM_RSRC2:TGID_Y_EN: 0
; COMPUTE_PGM_RSRC2:TGID_Z_EN: 1
; COMPUTE_PGM_RSRC2:TIDIG_COMP_CNT: 0
; COMPUTE_PGM_RSRC3_GFX90A:ACCUM_OFFSET: 6
; COMPUTE_PGM_RSRC3_GFX90A:TG_SPLIT: 0
	.section	.text._ZL29rocblas_trtri_diagonal_kernelILi16EdPKdPdEv13rocblas_fill_17rocblas_diagonal_iT1_lillT2_lilli,"axG",@progbits,_ZL29rocblas_trtri_diagonal_kernelILi16EdPKdPdEv13rocblas_fill_17rocblas_diagonal_iT1_lillT2_lilli,comdat
	.globl	_ZL29rocblas_trtri_diagonal_kernelILi16EdPKdPdEv13rocblas_fill_17rocblas_diagonal_iT1_lillT2_lilli ; -- Begin function _ZL29rocblas_trtri_diagonal_kernelILi16EdPKdPdEv13rocblas_fill_17rocblas_diagonal_iT1_lillT2_lilli
	.p2align	8
	.type	_ZL29rocblas_trtri_diagonal_kernelILi16EdPKdPdEv13rocblas_fill_17rocblas_diagonal_iT1_lillT2_lilli,@function
_ZL29rocblas_trtri_diagonal_kernelILi16EdPKdPdEv13rocblas_fill_17rocblas_diagonal_iT1_lillT2_lilli: ; @_ZL29rocblas_trtri_diagonal_kernelILi16EdPKdPdEv13rocblas_fill_17rocblas_diagonal_iT1_lillT2_lilli
; %bb.0:
	s_load_dwordx4 s[20:23], s[4:5], 0x0
	s_waitcnt lgkmcnt(0)
	s_ashr_i32 s0, s22, 31
	s_lshr_b32 s0, s0, 27
	s_add_i32 s0, s22, s0
	s_ashr_i32 s0, s0, 5
	v_cvt_f32_u32_e32 v1, s0
	s_sub_i32 s1, 0, s0
	v_rcp_iflag_f32_e32 v1, v1
	v_mul_f32_e32 v1, 0x4f7ffffe, v1
	v_cvt_u32_f32_e32 v1, v1
	v_readfirstlane_b32 s2, v1
	s_mul_i32 s1, s1, s2
	s_mul_hi_u32 s1, s2, s1
	s_add_i32 s2, s2, s1
	s_mul_hi_u32 s1, s6, s2
	s_mul_i32 s2, s1, s0
	s_sub_i32 s2, s6, s2
	s_add_i32 s3, s1, 1
	s_sub_i32 s8, s2, s0
	s_cmp_ge_u32 s2, s0
	s_cselect_b32 s1, s3, s1
	s_cselect_b32 s2, s8, s2
	s_add_i32 s3, s1, 1
	s_cmp_ge_u32 s2, s0
	s_cselect_b32 s35, s3, s1
	s_mul_i32 s0, s35, s0
	s_sub_i32 s36, s6, s0
	s_lshl_b32 s0, s36, 4
	s_cmp_eq_u32 s22, s0
	s_cbranch_scc1 .LBB6_101
; %bb.1:
	s_sub_i32 s34, s22, s0
	s_min_u32 s33, s34, 16
	s_lshl_b32 s6, s33, 1
	v_cmp_gt_u32_e64 s[8:9], s33, v0
	v_cmp_le_u32_e64 s[0:1], s33, v0
	v_cmp_gt_u32_e64 s[2:3], s6, v0
	v_cmp_le_u32_e32 vcc, s6, v0
	v_mov_b32_e32 v2, v0
	s_and_saveexec_b64 s[10:11], s[0:1]
	s_cbranch_execz .LBB6_7
; %bb.2:
                                        ; implicit-def: $vgpr2
	s_and_saveexec_b64 s[12:13], vcc
	s_xor_b64 s[12:13], exec, s[12:13]
; %bb.3:
	v_subrev_u32_e32 v2, s6, v0
; %bb.4:
	s_andn2_saveexec_b64 s[12:13], s[12:13]
; %bb.5:
	v_subrev_u32_e32 v2, s33, v0
; %bb.6:
	s_or_b64 exec, exec, s[12:13]
.LBB6_7:
	s_or_b64 exec, exec, s[10:11]
	s_load_dwordx4 s[24:27], s[4:5], 0x10
	s_load_dword s10, s[4:5], 0x20
	s_load_dwordx8 s[12:19], s[4:5], 0x28
	v_mov_b32_e32 v1, 0x1800
	v_cndmask_b32_e64 v1, 0, v1, s[2:3]
	v_mov_b32_e32 v3, 0x1000
	v_cndmask_b32_e64 v14, v1, v3, s[8:9]
	s_waitcnt lgkmcnt(0)
	s_ashr_i32 s11, s10, 31
	s_mul_i32 s6, s7, s13
	s_mul_hi_u32 s8, s7, s12
	s_add_i32 s9, s8, s6
	s_mul_i32 s8, s7, s12
	s_lshl_b64 s[12:13], s[10:11], 5
	s_add_u32 s6, s12, 32
	s_addc_u32 s12, s13, 0
	s_mul_i32 s12, s12, s36
	s_mul_hi_u32 s13, s6, s36
	s_add_i32 s13, s13, s12
	s_mul_i32 s12, s6, s36
	s_mul_i32 s6, s35, s15
	s_mul_hi_u32 s15, s35, s14
	s_add_i32 s15, s15, s6
	s_mul_i32 s14, s35, s14
	s_and_saveexec_b64 s[22:23], vcc
	s_xor_b64 s[22:23], exec, s[22:23]
	s_cbranch_execz .LBB6_17
; %bb.8:
	s_mul_i32 s6, s33, 3
	v_cmp_gt_u32_e32 vcc, s6, v0
	s_and_saveexec_b64 s[28:29], vcc
	s_cbranch_execz .LBB6_16
; %bb.9:
	s_cmpk_eq_i32 s20, 0x7a
	s_mov_b64 s[30:31], -1
	s_cbranch_scc1 .LBB6_13
; %bb.10:
	s_add_i32 s38, s33, -1
	s_mul_i32 s30, s33, s38
	s_lshl_b32 s30, s30, 3
	v_lshlrev_b32_e32 v1, 3, v2
	s_lshl_b32 s31, s33, 3
	s_add_i32 s6, s33, 1
	v_add3_u32 v1, s30, v1, v14
	s_sub_i32 s30, 0, s31
	s_lshl_b64 s[40:41], s[14:15], 3
	s_lshl_b64 s[42:43], s[8:9], 3
	s_add_u32 s37, s40, s42
	s_addc_u32 s42, s41, s43
	s_lshl_b64 s[40:41], s[12:13], 3
	s_mov_b32 s39, 0
	s_add_u32 s37, s37, s40
	s_addc_u32 s40, s42, s41
	s_lshl_b64 s[38:39], s[38:39], 3
	s_add_u32 s31, s31, s38
	s_addc_u32 s38, 0, s39
	s_mul_i32 s39, s31, s11
	s_mul_hi_u32 s41, s31, s10
	s_add_i32 s39, s41, s39
	s_mul_i32 s38, s38, s10
	s_add_i32 s39, s39, s38
	s_mul_i32 s31, s31, s10
	s_add_u32 s31, s37, s31
	s_addc_u32 s37, s40, s39
	s_lshl_b64 s[38:39], s[26:27], 3
	s_add_u32 s31, s31, s38
	s_addc_u32 s37, s37, s39
	v_ashrrev_i32_e32 v3, 31, v2
	s_add_u32 s31, s24, s31
	v_lshlrev_b64 v[4:5], 3, v[2:3]
	s_addc_u32 s37, s25, s37
	s_lshl_b64 s[38:39], s[10:11], 3
	v_add_co_u32_e32 v4, vcc, s31, v4
	s_sub_u32 s31, 0, s38
	v_mov_b32_e32 v3, s37
	s_subb_u32 s37, 0, s39
	v_addc_co_u32_e32 v5, vcc, v3, v5, vcc
	v_mov_b32_e32 v3, s37
.LBB6_11:                               ; =>This Inner Loop Header: Depth=1
	global_load_dwordx2 v[6:7], v[4:5], off
	s_add_i32 s6, s6, -1
	v_add_co_u32_e32 v4, vcc, s31, v4
	v_addc_co_u32_e32 v5, vcc, v5, v3, vcc
	s_cmp_gt_u32 s6, 1
	s_waitcnt vmcnt(0)
	ds_write_b64 v1, v[6:7]
	v_add_u32_e32 v1, s30, v1
	s_cbranch_scc1 .LBB6_11
; %bb.12:
	s_mov_b64 s[30:31], 0
.LBB6_13:
	s_and_b64 vcc, exec, s[30:31]
	s_cbranch_vccz .LBB6_16
; %bb.14:
	s_lshl_b64 s[30:31], s[8:9], 3
	s_add_u32 s6, s24, s30
	s_addc_u32 s37, s25, s31
	s_lshl_b64 s[30:31], s[26:27], 3
	s_add_u32 s6, s6, s30
	s_addc_u32 s37, s37, s31
	;; [unrolled: 3-line block ×3, first 2 shown]
	s_lshl_b64 s[30:31], s[14:15], 3
	v_add_u32_e32 v4, s33, v2
	s_add_u32 s6, s6, s30
	v_ashrrev_i32_e32 v5, 31, v4
	s_addc_u32 s30, s37, s31
	v_lshlrev_b64 v[4:5], 3, v[4:5]
	v_mov_b32_e32 v1, s30
	v_add_co_u32_e32 v4, vcc, s6, v4
	s_lshl_b64 s[30:31], s[10:11], 3
	v_addc_co_u32_e32 v5, vcc, v1, v5, vcc
	v_lshl_add_u32 v1, v2, 3, v14
	s_lshl_b32 s6, s33, 3
	v_mov_b32_e32 v3, s31
	s_mov_b32 s31, s33
.LBB6_15:                               ; =>This Inner Loop Header: Depth=1
	global_load_dwordx2 v[6:7], v[4:5], off
	s_add_i32 s31, s31, -1
	v_add_co_u32_e32 v4, vcc, s30, v4
	v_addc_co_u32_e32 v5, vcc, v5, v3, vcc
	s_cmp_eq_u32 s31, 0
	s_waitcnt vmcnt(0)
	ds_write_b64 v1, v[6:7]
	v_add_u32_e32 v1, s6, v1
	s_cbranch_scc0 .LBB6_15
.LBB6_16:
	s_or_b64 exec, exec, s[28:29]
.LBB6_17:
	s_andn2_saveexec_b64 s[22:23], s[22:23]
	s_cbranch_execz .LBB6_31
; %bb.18:
	v_pk_mov_b32 v[4:5], 0, 0
	s_and_saveexec_b64 s[28:29], s[0:1]
; %bb.19:
	s_add_u32 s6, s10, 1
	s_addc_u32 s30, s11, 0
	s_mul_i32 s30, s30, s33
	s_mul_hi_u32 s31, s6, s33
	s_add_i32 s31, s31, s30
	s_mul_i32 s30, s6, s33
	v_pk_mov_b32 v[4:5], s[30:31], s[30:31] op_sel:[0,1]
; %bb.20:
	s_or_b64 exec, exec, s[28:29]
	s_mov_b64 s[28:29], -1
	s_cmpk_lg_i32 s20, 0x7a
	v_lshlrev_b64 v[4:5], 3, v[4:5]
	s_cbranch_scc0 .LBB6_26
; %bb.21:
	s_add_i32 s6, s33, -1
	s_lshl_b32 s30, s33, 3
	s_lshl_b64 s[28:29], s[14:15], 3
	s_lshl_b64 s[38:39], s[8:9], 3
	s_add_u32 s31, s28, s38
	s_addc_u32 s37, s29, s39
	s_lshl_b64 s[28:29], s[12:13], 3
	s_add_u32 s31, s31, s28
	s_addc_u32 s37, s37, s29
	s_mul_i32 s28, s11, s6
	s_mul_hi_u32 s29, s10, s6
	s_add_i32 s29, s29, s28
	s_mul_i32 s28, s10, s6
	s_lshl_b64 s[28:29], s[28:29], 3
	s_add_u32 s31, s31, s28
	s_addc_u32 s37, s37, s29
	s_lshl_b64 s[28:29], s[26:27], 3
	s_add_u32 s28, s28, s31
	s_addc_u32 s29, s29, s37
	v_ashrrev_i32_e32 v3, 31, v2
	v_mov_b32_e32 v6, s29
	v_add_co_u32_e32 v8, vcc, s28, v4
	v_addc_co_u32_e32 v9, vcc, v6, v5, vcc
	v_lshlrev_b64 v[6:7], 3, v[2:3]
	v_add_co_u32_e32 v3, vcc, v8, v6
	s_lshl_b64 s[28:29], s[10:11], 3
	v_addc_co_u32_e32 v7, vcc, v9, v7, vcc
	s_sub_u32 s31, 0, s28
	v_sub_u32_e32 v1, s6, v2
	v_mov_b32_e32 v8, s25
	v_add_co_u32_e32 v6, vcc, s24, v3
	s_subb_u32 s28, 0, s29
	v_lshl_add_u32 v1, v1, 3, v14
	v_addc_co_u32_e32 v7, vcc, v8, v7, vcc
	v_mov_b32_e32 v3, s28
	s_branch .LBB6_23
.LBB6_22:                               ;   in Loop: Header=BB6_23 Depth=1
	s_or_b64 exec, exec, s[28:29]
	s_add_i32 s6, s6, -1
	v_add_co_u32_e32 v6, vcc, s31, v6
	s_waitcnt vmcnt(0)
	ds_write_b64 v1, v[8:9]
	v_add_u32_e32 v1, s30, v1
	s_cmp_eq_u32 s6, -1
	v_addc_co_u32_e32 v7, vcc, v7, v3, vcc
	s_cbranch_scc1 .LBB6_25
.LBB6_23:                               ; =>This Inner Loop Header: Depth=1
	v_cmp_ge_i32_e32 vcc, s6, v2
	v_pk_mov_b32 v[8:9], 0, 0
	s_and_saveexec_b64 s[28:29], vcc
	s_cbranch_execz .LBB6_22
; %bb.24:                               ;   in Loop: Header=BB6_23 Depth=1
	global_load_dwordx2 v[8:9], v[6:7], off
	s_branch .LBB6_22
.LBB6_25:
	s_mov_b64 s[28:29], 0
.LBB6_26:
	s_and_b64 vcc, exec, s[28:29]
	s_cbranch_vccz .LBB6_31
; %bb.27:
	s_lshl_b32 s6, s33, 3
	s_lshl_b64 s[14:15], s[14:15], 3
	s_lshl_b64 s[8:9], s[8:9], 3
	s_add_u32 s14, s14, s8
	s_addc_u32 s15, s15, s9
	s_lshl_b64 s[8:9], s[12:13], 3
	s_add_u32 s12, s14, s8
	s_addc_u32 s13, s15, s9
	;; [unrolled: 3-line block ×3, first 2 shown]
	v_ashrrev_i32_e32 v3, 31, v2
	v_mov_b32_e32 v6, s9
	v_add_co_u32_e32 v7, vcc, s8, v4
	v_addc_co_u32_e32 v6, vcc, v6, v5, vcc
	v_lshlrev_b64 v[4:5], 3, v[2:3]
	v_add_co_u32_e32 v3, vcc, v7, v4
	v_addc_co_u32_e32 v5, vcc, v6, v5, vcc
	v_mov_b32_e32 v6, s25
	v_add_co_u32_e32 v4, vcc, s24, v3
	s_lshl_b64 s[8:9], s[10:11], 3
	v_lshl_add_u32 v1, v2, 3, v14
	v_addc_co_u32_e32 v5, vcc, v6, v5, vcc
	s_mov_b32 s12, 0
	v_mov_b32_e32 v3, s9
	s_branch .LBB6_29
.LBB6_28:                               ;   in Loop: Header=BB6_29 Depth=1
	s_or_b64 exec, exec, s[10:11]
	s_add_i32 s12, s12, 1
	v_add_co_u32_e32 v4, vcc, s8, v4
	s_waitcnt vmcnt(0)
	ds_write_b64 v1, v[6:7]
	v_add_u32_e32 v1, s6, v1
	s_cmp_eq_u32 s33, s12
	v_addc_co_u32_e32 v5, vcc, v5, v3, vcc
	s_cbranch_scc1 .LBB6_31
.LBB6_29:                               ; =>This Inner Loop Header: Depth=1
	v_cmp_le_i32_e32 vcc, s12, v2
	v_pk_mov_b32 v[6:7], 0, 0
	s_and_saveexec_b64 s[10:11], vcc
	s_cbranch_execz .LBB6_28
; %bb.30:                               ;   in Loop: Header=BB6_29 Depth=1
	global_load_dwordx2 v[6:7], v[4:5], off
	s_branch .LBB6_28
.LBB6_31:
	s_or_b64 exec, exec, s[22:23]
	s_waitcnt lgkmcnt(0)
	s_barrier
	s_and_saveexec_b64 s[8:9], s[2:3]
	s_cbranch_execz .LBB6_37
; %bb.32:
	s_add_i32 s6, s33, 1
	v_mul_i32_i24_e32 v1, s6, v2
	v_mov_b32_e32 v6, 0
	s_cmpk_eq_i32 s21, 0x84
	v_lshl_add_u32 v1, v1, 3, v14
	v_mov_b32_e32 v7, 0x3ff00000
	s_cbranch_scc1 .LBB6_36
; %bb.33:
	ds_read_b64 v[4:5], v1
	v_mov_b32_e32 v6, 0
	v_mov_b32_e32 v7, 0x3ff00000
	s_waitcnt lgkmcnt(0)
	v_cmp_neq_f64_e32 vcc, 0, v[4:5]
	s_and_saveexec_b64 s[10:11], vcc
; %bb.34:
	v_div_scale_f64 v[6:7], s[12:13], v[4:5], v[4:5], 1.0
	v_rcp_f64_e32 v[8:9], v[6:7]
	v_div_scale_f64 v[10:11], vcc, 1.0, v[4:5], 1.0
	v_fma_f64 v[12:13], -v[6:7], v[8:9], 1.0
	v_fmac_f64_e32 v[8:9], v[8:9], v[12:13]
	v_fma_f64 v[12:13], -v[6:7], v[8:9], 1.0
	v_fmac_f64_e32 v[8:9], v[8:9], v[12:13]
	v_mul_f64 v[12:13], v[10:11], v[8:9]
	v_fma_f64 v[6:7], -v[6:7], v[12:13], v[10:11]
	v_div_fmas_f64 v[6:7], v[6:7], v[8:9], v[12:13]
	v_div_fixup_f64 v[6:7], v[6:7], v[4:5], 1.0
; %bb.35:
	s_or_b64 exec, exec, s[10:11]
.LBB6_36:
	ds_write_b64 v1, v[6:7]
.LBB6_37:
	s_or_b64 exec, exec, s[8:9]
	s_waitcnt lgkmcnt(0)
	s_barrier
	s_and_saveexec_b64 s[8:9], s[2:3]
	s_cbranch_execz .LBB6_49
; %bb.38:
	s_add_i32 s6, s33, 1
	v_lshlrev_b32_e32 v4, 3, v2
	v_mul_i32_i24_e32 v3, s6, v2
	s_lshl_b32 s6, s33, 3
	v_add_u32_e32 v1, v14, v4
	v_lshl_add_u32 v3, v3, 3, v14
	v_add_u32_e32 v6, 8, v14
	s_add_i32 s12, s6, 8
	v_add3_u32 v7, v4, s6, v14
	s_mov_b32 s13, 0
	s_branch .LBB6_40
.LBB6_39:                               ;   in Loop: Header=BB6_40 Depth=1
	v_add_u32_e32 v6, s12, v6
	s_cmp_eq_u32 s13, s33
	v_add_u32_e32 v7, s6, v7
	s_cbranch_scc1 .LBB6_49
.LBB6_40:                               ; =>This Loop Header: Depth=1
                                        ;     Child Loop BB6_45 Depth 2
	v_cmp_lt_i32_e32 vcc, s13, v2
	v_pk_mov_b32 v[4:5], 0, 0
	s_mul_i32 s14, s13, s33
	s_and_saveexec_b64 s[10:11], vcc
	s_cbranch_execz .LBB6_42
; %bb.41:                               ;   in Loop: Header=BB6_40 Depth=1
	s_lshl_b32 s15, s13, 3
	s_lshl_b32 s21, s14, 3
	s_add_i32 s15, s21, s15
	v_add_u32_e32 v8, s15, v14
	v_add_u32_e32 v4, s21, v1
	ds_read_b64 v[4:5], v4
	ds_read_b64 v[8:9], v8
	s_waitcnt lgkmcnt(0)
	v_fma_f64 v[4:5], v[4:5], v[8:9], 0
.LBB6_42:                               ;   in Loop: Header=BB6_40 Depth=1
	s_or_b64 exec, exec, s[10:11]
	s_add_i32 s13, s13, 1
	s_cmp_ge_u32 s13, s33
	s_cbranch_scc1 .LBB6_39
; %bb.43:                               ;   in Loop: Header=BB6_40 Depth=1
	v_lshl_add_u32 v8, s14, 3, v1
	v_mov_b32_e32 v9, v7
	v_mov_b32_e32 v10, v6
	s_mov_b32 s14, s13
	s_branch .LBB6_45
.LBB6_44:                               ;   in Loop: Header=BB6_45 Depth=2
	s_or_b64 exec, exec, s[10:11]
	s_add_i32 s14, s14, 1
	v_add_u32_e32 v10, 8, v10
	s_cmp_ge_u32 s14, s33
	v_add_u32_e32 v9, s6, v9
	s_cbranch_scc1 .LBB6_39
.LBB6_45:                               ;   Parent Loop BB6_40 Depth=1
                                        ; =>  This Inner Loop Header: Depth=2
	v_cmp_eq_u32_e32 vcc, s14, v2
	s_and_saveexec_b64 s[10:11], vcc
	s_cbranch_execz .LBB6_47
; %bb.46:                               ;   in Loop: Header=BB6_45 Depth=2
	ds_read_b64 v[12:13], v3
	v_add_f64 v[16:17], -v[4:5], 0
	s_waitcnt lgkmcnt(0)
	v_mul_f64 v[12:13], v[16:17], v[12:13]
	ds_write_b64 v8, v[12:13]
.LBB6_47:                               ;   in Loop: Header=BB6_45 Depth=2
	s_or_b64 exec, exec, s[10:11]
	v_cmp_lt_i32_e32 vcc, s14, v2
	s_and_saveexec_b64 s[10:11], vcc
	s_cbranch_execz .LBB6_44
; %bb.48:                               ;   in Loop: Header=BB6_45 Depth=2
	ds_read_b64 v[12:13], v9
	ds_read_b64 v[16:17], v10
	s_waitcnt lgkmcnt(0)
	v_fmac_f64_e32 v[4:5], v[12:13], v[16:17]
	s_branch .LBB6_44
.LBB6_49:
	s_or_b64 exec, exec, s[8:9]
	s_and_b32 s6, s33, 0xffff
	v_cvt_f32_u32_e32 v1, s6
	v_cvt_f32_ubyte0_e32 v3, v0
	s_cmpk_lg_i32 s20, 0x7a
	s_cselect_b64 s[10:11], -1, 0
	v_rcp_iflag_f32_e32 v4, v1
	s_mul_i32 s6, s33, s33
	v_cmp_gt_u32_e64 s[8:9], s6, v0
	s_waitcnt lgkmcnt(0)
	v_mul_f32_e32 v4, v3, v4
	v_trunc_f32_e32 v4, v4
	v_cvt_u32_f32_e32 v5, v4
	v_mad_f32 v3, -v4, v1, v3
	v_cmp_ge_f32_e64 vcc, |v3|, v1
	s_barrier
	v_addc_co_u32_e32 v1, vcc, 0, v5, vcc
	v_and_b32_e32 v5, 0xffff, v1
	v_mul_lo_u16_e32 v1, s33, v1
	v_sub_u16_e32 v3, v0, v1
	s_and_b64 vcc, exec, s[10:11]
	s_cbranch_vccz .LBB6_61
; %bb.50:
	s_mov_b64 s[12:13], 0
	s_mov_b64 s[20:21], 0
                                        ; implicit-def: $vgpr0_vgpr1
                                        ; implicit-def: $vgpr4
	s_and_saveexec_b64 s[14:15], s[8:9]
	s_cbranch_execz .LBB6_60
; %bb.51:
	v_add_u32_e32 v7, 1, v5
	v_cmp_lt_u16_e32 vcc, 6, v5
	v_pk_mov_b32 v[0:1], 0, 0
	v_mov_b32_e32 v4, 0
	v_lshlrev_b32_e32 v6, 7, v5
	s_and_saveexec_b64 s[20:21], vcc
	s_cbranch_execz .LBB6_55
; %bb.52:
	v_and_b32_e32 v4, 0x7f8, v7
	v_lshlrev_b32_e32 v8, 3, v3
	v_sub_u32_e32 v9, 0x1fc0, v6
	s_mov_b32 s6, 0
	s_mov_b64 s[22:23], 0
	v_pk_mov_b32 v[0:1], 0, 0
.LBB6_53:                               ; =>This Inner Loop Header: Depth=1
	ds_read2_b64 v[10:13], v8 offset1:16
	ds_read_b128 v[16:19], v9
	ds_read_b128 v[20:23], v9 offset:16
	ds_read_b128 v[24:27], v9 offset:32
	;; [unrolled: 1-line block ×3, first 2 shown]
	ds_read2_b64 v[32:35], v8 offset0:32 offset1:48
	ds_read2_b64 v[36:39], v8 offset0:64 offset1:80
	;; [unrolled: 1-line block ×3, first 2 shown]
	s_add_i32 s6, s6, 8
	s_waitcnt lgkmcnt(3)
	v_fmac_f64_e32 v[0:1], v[10:11], v[30:31]
	v_fmac_f64_e32 v[0:1], v[12:13], v[28:29]
	s_waitcnt lgkmcnt(2)
	v_fmac_f64_e32 v[0:1], v[32:33], v[26:27]
	v_fmac_f64_e32 v[0:1], v[34:35], v[24:25]
	;; [unrolled: 3-line block ×3, first 2 shown]
	v_cmp_eq_u32_e32 vcc, s6, v4
	s_waitcnt lgkmcnt(0)
	v_fmac_f64_e32 v[0:1], v[40:41], v[18:19]
	v_add_u32_e32 v8, 0x400, v8
	v_subrev_u32_e32 v9, 64, v9
	s_or_b64 s[22:23], vcc, s[22:23]
	v_fmac_f64_e32 v[0:1], v[42:43], v[16:17]
	s_andn2_b64 exec, exec, s[22:23]
	s_cbranch_execnz .LBB6_53
; %bb.54:
	s_or_b64 exec, exec, s[22:23]
.LBB6_55:
	s_or_b64 exec, exec, s[20:21]
	v_and_b32_e32 v7, 7, v7
	v_cmp_ne_u32_e32 vcc, 0, v7
	s_and_saveexec_b64 s[20:21], vcc
	s_cbranch_execz .LBB6_59
; %bb.56:
	v_lshl_add_u32 v6, v4, 3, v6
	v_lshlrev_b32_e32 v8, 3, v3
	v_sub_u32_e32 v6, 0x1ff8, v6
	v_lshl_add_u32 v4, v4, 7, v8
	s_mov_b64 s[22:23], 0
.LBB6_57:                               ; =>This Inner Loop Header: Depth=1
	ds_read_b64 v[8:9], v4
	ds_read_b64 v[10:11], v6
	v_add_u32_e32 v7, -1, v7
	v_cmp_eq_u32_e32 vcc, 0, v7
	v_add_u32_e32 v6, -8, v6
	v_add_u32_e32 v4, 0x80, v4
	s_or_b64 s[22:23], vcc, s[22:23]
	s_waitcnt lgkmcnt(0)
	v_fmac_f64_e32 v[0:1], v[8:9], v[10:11]
	s_andn2_b64 exec, exec, s[22:23]
	s_cbranch_execnz .LBB6_57
; %bb.58:
	s_or_b64 exec, exec, s[22:23]
.LBB6_59:
	s_or_b64 exec, exec, s[20:21]
	s_mov_b64 s[20:21], exec
	v_lshlrev_b32_e32 v4, 4, v5
.LBB6_60:
	s_or_b64 exec, exec, s[14:15]
	s_and_b64 vcc, exec, s[12:13]
	s_cbranch_vccnz .LBB6_62
	s_branch .LBB6_69
.LBB6_61:
	s_mov_b64 s[20:21], 0
                                        ; implicit-def: $vgpr0_vgpr1
                                        ; implicit-def: $vgpr4
	s_cbranch_execz .LBB6_69
.LBB6_62:
                                        ; implicit-def: $vgpr0_vgpr1
                                        ; implicit-def: $vgpr4
	s_and_saveexec_b64 s[12:13], s[8:9]
	s_cbranch_execz .LBB6_68
; %bb.63:
	v_cmp_gt_u16_e32 vcc, 16, v5
	v_pk_mov_b32 v[0:1], 0, 0
	s_and_saveexec_b64 s[14:15], vcc
	s_cbranch_execz .LBB6_67
; %bb.64:
	v_lshlrev_b32_e32 v0, 3, v3
	v_lshl_add_u32 v4, v5, 7, v0
	s_movk_i32 s6, 0x88
	v_mov_b32_e32 v0, 0x1000
	v_add_u32_e32 v6, -1, v5
	v_mad_u32_u24 v7, v5, s6, v0
	s_mov_b64 s[22:23], 0
	v_pk_mov_b32 v[0:1], 0, 0
.LBB6_65:                               ; =>This Inner Loop Header: Depth=1
	ds_read_b64 v[8:9], v4
	ds_read_b64 v[10:11], v7
	v_add_u32_e32 v6, 1, v6
	v_cmp_lt_u32_e32 vcc, 14, v6
	v_add_u32_e32 v4, 0x80, v4
	v_add_u32_e32 v7, 8, v7
	s_or_b64 s[22:23], vcc, s[22:23]
	s_waitcnt lgkmcnt(0)
	v_fmac_f64_e32 v[0:1], v[8:9], v[10:11]
	s_andn2_b64 exec, exec, s[22:23]
	s_cbranch_execnz .LBB6_65
; %bb.66:
	s_or_b64 exec, exec, s[22:23]
.LBB6_67:
	s_or_b64 exec, exec, s[14:15]
	v_lshlrev_b32_e32 v4, 4, v5
	s_or_b64 s[20:21], s[20:21], exec
.LBB6_68:
	s_or_b64 exec, exec, s[12:13]
.LBB6_69:
	s_and_saveexec_b64 s[12:13], s[20:21]
	s_cbranch_execz .LBB6_71
; %bb.70:
	v_add_lshl_u32 v4, v4, v3, 3
	ds_write_b64 v4, v[0:1] offset:2048
.LBB6_71:
	s_or_b64 exec, exec, s[12:13]
	s_load_dword s12, s[4:5], 0x48
	s_load_dwordx4 s[20:23], s[4:5], 0x50
	s_waitcnt lgkmcnt(0)
	s_barrier
	s_ashr_i32 s13, s12, 31
	s_mul_i32 s5, s7, s21
	s_mul_hi_u32 s6, s7, s20
	s_mul_i32 s4, s7, s20
	s_add_i32 s5, s6, s5
	s_lshl_b64 s[6:7], s[4:5], 3
	s_add_u32 s14, s16, s6
	s_addc_u32 s15, s17, s7
	s_lshl_b64 s[4:5], s[18:19], 3
	s_add_u32 s18, s14, s4
	s_addc_u32 s19, s15, s5
	;; [unrolled: 3-line block ×3, first 2 shown]
	s_mul_i32 s15, s15, s36
	s_mul_hi_u32 s20, s14, s36
	s_add_i32 s15, s20, s15
	s_mul_i32 s14, s14, s36
	s_lshl_b64 s[14:15], s[14:15], 3
	s_add_u32 s20, s18, s14
	s_addc_u32 s21, s19, s15
	s_mul_i32 s18, s35, s23
	s_mul_hi_u32 s19, s35, s22
	s_add_i32 s19, s19, s18
	s_mul_i32 s18, s35, s22
	s_lshl_b64 s[18:19], s[18:19], 3
	s_add_u32 s24, s20, s18
	s_addc_u32 s25, s21, s19
	s_mov_b64 s[20:21], -1
	s_and_b64 vcc, exec, s[10:11]
	s_cbranch_vccnz .LBB6_74
; %bb.72:
	s_andn2_b64 vcc, exec, s[20:21]
	s_cbranch_vccz .LBB6_79
.LBB6_73:
	s_and_saveexec_b64 s[8:9], s[2:3]
	s_cbranch_execnz .LBB6_90
	s_branch .LBB6_101
.LBB6_74:
	s_and_saveexec_b64 s[20:21], s[8:9]
	s_cbranch_execz .LBB6_78
; %bb.75:
	v_mad_u32_u24 v0, s33, v5, v3
	v_mov_b32_e32 v1, 0x800
	v_lshl_add_u32 v7, v0, 3, v1
	v_sub_u32_e32 v0, s33, v3
	v_mul_i32_i24_e32 v0, s33, v0
	v_lshlrev_b32_e32 v0, 3, v0
	v_lshlrev_b32_e32 v4, 3, v3
	v_sub_u32_e32 v0, v0, v4
	s_lshl_b32 s22, s33, 3
	v_add_u32_e32 v6, -1, v3
	v_add_u32_e32 v8, 0xff8, v0
	s_sub_i32 s26, 0, s22
	s_mov_b64 s[22:23], 0
	v_pk_mov_b32 v[0:1], 0, 0
.LBB6_76:                               ; =>This Inner Loop Header: Depth=1
	ds_read_b64 v[10:11], v8
	ds_read_b64 v[12:13], v7
	v_add_u32_e32 v6, 1, v6
	v_cmp_lt_u32_e32 vcc, 14, v6
	v_add_u32_e32 v7, 8, v7
	v_add_u32_e32 v8, s26, v8
	s_or_b64 s[22:23], vcc, s[22:23]
	s_waitcnt lgkmcnt(0)
	v_fma_f64 v[0:1], -v[10:11], v[12:13], v[0:1]
	s_andn2_b64 exec, exec, s[22:23]
	s_cbranch_execnz .LBB6_76
; %bb.77:
	s_or_b64 exec, exec, s[22:23]
	s_mul_hi_i32 s23, s33, s12
	s_mul_i32 s22, s33, s12
	s_lshl_b64 s[22:23], s[22:23], 3
	s_add_u32 s22, s24, s22
	s_addc_u32 s23, s25, s23
	v_mad_i64_i32 v[6:7], s[26:27], v5, s12, 0
	v_mov_b32_e32 v8, s23
	v_add_co_u32_e32 v4, vcc, s22, v4
	v_addc_co_u32_e32 v8, vcc, 0, v8, vcc
	v_lshlrev_b64 v[6:7], 3, v[6:7]
	v_add_co_u32_e32 v6, vcc, v4, v6
	v_addc_co_u32_e32 v7, vcc, v8, v7, vcc
	global_store_dwordx2 v[6:7], v[0:1], off
.LBB6_78:
	s_or_b64 exec, exec, s[20:21]
	s_cbranch_execnz .LBB6_73
.LBB6_79:
	s_and_saveexec_b64 s[20:21], s[8:9]
	s_cbranch_execz .LBB6_89
; %bb.80:
	v_mul_u32_u24_e32 v15, s33, v5
	v_add_u32_e32 v17, 1, v3
	v_cmp_lt_u16_e32 vcc, 6, v3
	v_pk_mov_b32 v[0:1], 0, 0
	v_mov_b32_e32 v16, 0
	s_and_saveexec_b64 s[8:9], vcc
	s_cbranch_execz .LBB6_84
; %bb.81:
	v_mov_b32_e32 v0, 0x800
	v_lshl_add_u32 v18, v15, 3, v0
	v_mov_b32_e32 v0, 0x1800
	v_lshl_add_u32 v4, v3, 3, v0
	v_mad_u64_u32 v[6:7], s[22:23], s33, 24, v[4:5]
	v_mad_u64_u32 v[8:9], s[22:23], s33, 40, v[4:5]
	;; [unrolled: 1-line block ×4, first 2 shown]
	v_and_b32_e32 v16, 56, v17
	v_lshl_add_u32 v19, s33, 3, v4
	s_lshl_b32 s26, s33, 6
	v_lshl_add_u32 v20, s33, 4, v4
	v_lshl_add_u32 v7, s33, 5, v4
	s_mov_b32 s27, 0
	s_mov_b64 s[22:23], 0
	v_pk_mov_b32 v[0:1], 0, 0
.LBB6_82:                               ; =>This Inner Loop Header: Depth=1
	ds_read_b64 v[38:39], v4
	ds_read2_b64 v[22:25], v18 offset1:1
	ds_read2_b64 v[26:29], v18 offset0:2 offset1:3
	ds_read_b64 v[40:41], v19
	ds_read_b64 v[42:43], v20
	;; [unrolled: 1-line block ×3, first 2 shown]
	ds_read2_b64 v[30:33], v18 offset0:4 offset1:5
	ds_read2_b64 v[34:37], v18 offset0:6 offset1:7
	ds_read_b64 v[46:47], v6
	ds_read_b64 v[48:49], v8
	;; [unrolled: 1-line block ×4, first 2 shown]
	s_waitcnt lgkmcnt(10)
	v_fma_f64 v[0:1], -v[38:39], v[22:23], v[0:1]
	s_waitcnt lgkmcnt(8)
	v_fma_f64 v[0:1], -v[40:41], v[24:25], v[0:1]
	;; [unrolled: 2-line block ×4, first 2 shown]
	v_fma_f64 v[0:1], -v[44:45], v[30:31], v[0:1]
	s_add_i32 s27, s27, 8
	s_waitcnt lgkmcnt(2)
	v_fma_f64 v[0:1], -v[48:49], v[32:33], v[0:1]
	v_cmp_eq_u32_e32 vcc, s27, v16
	s_waitcnt lgkmcnt(1)
	v_fma_f64 v[0:1], -v[50:51], v[34:35], v[0:1]
	v_add_u32_e32 v18, 64, v18
	v_add_u32_e32 v19, s26, v19
	;; [unrolled: 1-line block ×9, first 2 shown]
	s_or_b64 s[22:23], vcc, s[22:23]
	s_waitcnt lgkmcnt(0)
	v_fma_f64 v[0:1], -v[52:53], v[36:37], v[0:1]
	s_andn2_b64 exec, exec, s[22:23]
	s_cbranch_execnz .LBB6_82
; %bb.83:
	s_or_b64 exec, exec, s[22:23]
.LBB6_84:
	s_or_b64 exec, exec, s[8:9]
	v_and_b32_e32 v4, 7, v17
	v_cmp_ne_u32_e32 vcc, 0, v4
	s_and_saveexec_b64 s[8:9], vcc
	s_cbranch_execz .LBB6_88
; %bb.85:
	v_add_u32_e32 v6, v15, v16
	v_mov_b32_e32 v7, 0x800
	v_lshl_add_u32 v6, v6, 3, v7
	v_mad_u32_u24 v7, v16, s33, v3
	v_mov_b32_e32 v8, 0x1800
	v_lshl_add_u32 v7, v7, 3, v8
	s_lshl_b32 s26, s33, 3
	s_mov_b64 s[22:23], 0
.LBB6_86:                               ; =>This Inner Loop Header: Depth=1
	ds_read_b64 v[8:9], v7
	ds_read_b64 v[10:11], v6
	v_add_u32_e32 v4, -1, v4
	v_cmp_eq_u32_e32 vcc, 0, v4
	v_add_u32_e32 v6, 8, v6
	v_add_u32_e32 v7, s26, v7
	s_or_b64 s[22:23], vcc, s[22:23]
	s_waitcnt lgkmcnt(0)
	v_fma_f64 v[0:1], -v[8:9], v[10:11], v[0:1]
	s_andn2_b64 exec, exec, s[22:23]
	s_cbranch_execnz .LBB6_86
; %bb.87:
	s_or_b64 exec, exec, s[22:23]
.LBB6_88:
	s_or_b64 exec, exec, s[8:9]
	v_mad_i64_i32 v[4:5], s[8:9], v5, s12, 0
	v_lshlrev_b64 v[4:5], 3, v[4:5]
	v_mov_b32_e32 v6, s25
	v_add_co_u32_e32 v4, vcc, s24, v4
	v_addc_co_u32_e32 v5, vcc, v6, v5, vcc
	v_add_lshl_u32 v3, s33, v3, 3
	v_add_co_u32_e32 v4, vcc, v4, v3
	v_addc_co_u32_e32 v5, vcc, 0, v5, vcc
	global_store_dwordx2 v[4:5], v[0:1], off
.LBB6_89:
	s_or_b64 exec, exec, s[20:21]
	s_and_saveexec_b64 s[8:9], s[2:3]
	s_cbranch_execz .LBB6_101
.LBB6_90:
	v_pk_mov_b32 v[0:1], 0, 0
	s_and_saveexec_b64 s[2:3], s[0:1]
	s_cbranch_execnz .LBB6_93
; %bb.91:
	s_or_b64 exec, exec, s[2:3]
	s_mov_b64 s[0:1], -1
	s_and_b64 vcc, exec, s[10:11]
	s_cbranch_vccnz .LBB6_94
.LBB6_92:
	s_andn2_b64 vcc, exec, s[0:1]
	s_cbranch_vccz .LBB6_98
	s_branch .LBB6_101
.LBB6_93:
	s_add_u32 s0, s12, 1
	s_addc_u32 s1, s13, 0
	s_mul_i32 s1, s1, s33
	s_mul_hi_u32 s8, s0, s33
	s_add_i32 s1, s8, s1
	s_mul_i32 s0, s0, s33
	v_pk_mov_b32 v[0:1], s[0:1], s[0:1] op_sel:[0,1]
	s_or_b64 exec, exec, s[2:3]
	s_mov_b64 s[0:1], -1
	s_and_b64 vcc, exec, s[10:11]
	s_cbranch_vccz .LBB6_92
.LBB6_94:
	v_cmp_gt_i32_e32 vcc, s33, v2
	s_and_saveexec_b64 s[0:1], vcc
	s_cbranch_execz .LBB6_97
; %bb.95:
	s_cmp_lt_u32 s34, 16
	s_cselect_b32 s3, s34, 16
	s_cselect_b32 s2, 0, 0
	s_add_u32 s8, s3, -1
	s_addc_u32 s2, s2, -1
	s_mul_i32 s3, s8, s13
	s_mul_hi_u32 s9, s8, s12
	s_add_i32 s3, s9, s3
	s_mul_i32 s2, s2, s12
	s_add_i32 s3, s3, s2
	s_mul_i32 s2, s8, s12
	s_lshl_b64 s[2:3], s[2:3], 3
	s_add_u32 s2, s2, s18
	s_addc_u32 s3, s3, s19
	s_add_u32 s2, s2, s6
	s_addc_u32 s3, s3, s7
	;; [unrolled: 2-line block ×3, first 2 shown]
	s_add_u32 s2, s4, s2
	v_xad_u32 v3, v2, -1, s33
	v_lshlrev_b64 v[4:5], 3, v[0:1]
	s_addc_u32 s3, s5, s3
	v_lshl_add_u32 v6, v3, 3, v14
	v_ashrrev_i32_e32 v3, 31, v2
	v_mov_b32_e32 v7, s3
	v_add_co_u32_e32 v8, vcc, s2, v4
	v_addc_co_u32_e32 v7, vcc, v7, v5, vcc
	v_lshlrev_b64 v[4:5], 3, v[2:3]
	v_add_co_u32_e32 v3, vcc, v8, v4
	s_lshl_b64 s[4:5], s[12:13], 3
	v_addc_co_u32_e32 v5, vcc, v7, v5, vcc
	s_sub_u32 s4, 0, s4
	v_mov_b32_e32 v7, s17
	v_add_co_u32_e32 v4, vcc, s16, v3
	s_subb_u32 s6, 0, s5
	v_addc_co_u32_e32 v5, vcc, v7, v5, vcc
	s_mov_b64 s[2:3], 0
	s_lshl_b32 s5, s33, 3
	v_mov_b32_e32 v3, s6
	s_mov_b32 s6, s33
.LBB6_96:                               ; =>This Inner Loop Header: Depth=1
	ds_read_b64 v[8:9], v6
	s_add_i32 s6, s6, -1
	v_cmp_le_i32_e32 vcc, s6, v2
	s_or_b64 s[2:3], vcc, s[2:3]
	v_add_u32_e32 v6, s5, v6
	s_waitcnt lgkmcnt(0)
	global_store_dwordx2 v[4:5], v[8:9], off
	v_add_co_u32_e32 v4, vcc, s4, v4
	v_addc_co_u32_e32 v5, vcc, v5, v3, vcc
	s_andn2_b64 exec, exec, s[2:3]
	s_cbranch_execnz .LBB6_96
.LBB6_97:
	s_or_b64 exec, exec, s[0:1]
	s_cbranch_execnz .LBB6_101
.LBB6_98:
	v_cmp_lt_i32_e32 vcc, -1, v2
	s_and_b64 exec, exec, vcc
	s_cbranch_execz .LBB6_101
; %bb.99:
	v_lshlrev_b64 v[0:1], 3, v[0:1]
	v_mov_b32_e32 v3, 0
	v_mov_b32_e32 v5, s25
	v_add_co_u32_e32 v6, vcc, s24, v0
	v_addc_co_u32_e32 v5, vcc, v5, v1, vcc
	v_lshlrev_b64 v[0:1], 3, v[2:3]
	v_add_co_u32_e32 v0, vcc, v6, v0
	s_lshl_b64 s[0:1], s[12:13], 3
	v_lshl_add_u32 v4, v2, 3, v14
	v_addc_co_u32_e32 v1, vcc, v5, v1, vcc
	v_add_u32_e32 v2, 1, v2
	s_lshl_b32 s4, s33, 3
	s_mov_b64 s[2:3], 0
	v_mov_b32_e32 v3, s1
.LBB6_100:                              ; =>This Inner Loop Header: Depth=1
	ds_read_b64 v[6:7], v4
	v_add_u32_e32 v2, -1, v2
	v_cmp_eq_u32_e32 vcc, 0, v2
	s_or_b64 s[2:3], vcc, s[2:3]
	v_add_u32_e32 v4, s4, v4
	s_waitcnt lgkmcnt(0)
	global_store_dwordx2 v[0:1], v[6:7], off
	v_add_co_u32_e32 v0, vcc, s0, v0
	v_addc_co_u32_e32 v1, vcc, v1, v3, vcc
	s_andn2_b64 exec, exec, s[2:3]
	s_cbranch_execnz .LBB6_100
.LBB6_101:
	s_endpgm
	.section	.rodata,"a",@progbits
	.p2align	6, 0x0
	.amdhsa_kernel _ZL29rocblas_trtri_diagonal_kernelILi16EdPKdPdEv13rocblas_fill_17rocblas_diagonal_iT1_lillT2_lilli
		.amdhsa_group_segment_fixed_size 8192
		.amdhsa_private_segment_fixed_size 0
		.amdhsa_kernarg_size 100
		.amdhsa_user_sgpr_count 6
		.amdhsa_user_sgpr_private_segment_buffer 1
		.amdhsa_user_sgpr_dispatch_ptr 0
		.amdhsa_user_sgpr_queue_ptr 0
		.amdhsa_user_sgpr_kernarg_segment_ptr 1
		.amdhsa_user_sgpr_dispatch_id 0
		.amdhsa_user_sgpr_flat_scratch_init 0
		.amdhsa_user_sgpr_kernarg_preload_length 0
		.amdhsa_user_sgpr_kernarg_preload_offset 0
		.amdhsa_user_sgpr_private_segment_size 0
		.amdhsa_uses_dynamic_stack 0
		.amdhsa_system_sgpr_private_segment_wavefront_offset 0
		.amdhsa_system_sgpr_workgroup_id_x 1
		.amdhsa_system_sgpr_workgroup_id_y 0
		.amdhsa_system_sgpr_workgroup_id_z 1
		.amdhsa_system_sgpr_workgroup_info 0
		.amdhsa_system_vgpr_workitem_id 0
		.amdhsa_next_free_vgpr 54
		.amdhsa_next_free_sgpr 44
		.amdhsa_accum_offset 56
		.amdhsa_reserve_vcc 1
		.amdhsa_reserve_flat_scratch 0
		.amdhsa_float_round_mode_32 0
		.amdhsa_float_round_mode_16_64 0
		.amdhsa_float_denorm_mode_32 3
		.amdhsa_float_denorm_mode_16_64 3
		.amdhsa_dx10_clamp 1
		.amdhsa_ieee_mode 1
		.amdhsa_fp16_overflow 0
		.amdhsa_tg_split 0
		.amdhsa_exception_fp_ieee_invalid_op 0
		.amdhsa_exception_fp_denorm_src 0
		.amdhsa_exception_fp_ieee_div_zero 0
		.amdhsa_exception_fp_ieee_overflow 0
		.amdhsa_exception_fp_ieee_underflow 0
		.amdhsa_exception_fp_ieee_inexact 0
		.amdhsa_exception_int_div_zero 0
	.end_amdhsa_kernel
	.section	.text._ZL29rocblas_trtri_diagonal_kernelILi16EdPKdPdEv13rocblas_fill_17rocblas_diagonal_iT1_lillT2_lilli,"axG",@progbits,_ZL29rocblas_trtri_diagonal_kernelILi16EdPKdPdEv13rocblas_fill_17rocblas_diagonal_iT1_lillT2_lilli,comdat
.Lfunc_end6:
	.size	_ZL29rocblas_trtri_diagonal_kernelILi16EdPKdPdEv13rocblas_fill_17rocblas_diagonal_iT1_lillT2_lilli, .Lfunc_end6-_ZL29rocblas_trtri_diagonal_kernelILi16EdPKdPdEv13rocblas_fill_17rocblas_diagonal_iT1_lillT2_lilli
                                        ; -- End function
	.section	.AMDGPU.csdata,"",@progbits
; Kernel info:
; codeLenInByte = 3868
; NumSgprs: 48
; NumVgprs: 54
; NumAgprs: 0
; TotalNumVgprs: 54
; ScratchSize: 0
; MemoryBound: 0
; FloatMode: 240
; IeeeMode: 1
; LDSByteSize: 8192 bytes/workgroup (compile time only)
; SGPRBlocks: 5
; VGPRBlocks: 6
; NumSGPRsForWavesPerEU: 48
; NumVGPRsForWavesPerEU: 54
; AccumOffset: 56
; Occupancy: 8
; WaveLimiterHint : 0
; COMPUTE_PGM_RSRC2:SCRATCH_EN: 0
; COMPUTE_PGM_RSRC2:USER_SGPR: 6
; COMPUTE_PGM_RSRC2:TRAP_HANDLER: 0
; COMPUTE_PGM_RSRC2:TGID_X_EN: 1
; COMPUTE_PGM_RSRC2:TGID_Y_EN: 0
; COMPUTE_PGM_RSRC2:TGID_Z_EN: 1
; COMPUTE_PGM_RSRC2:TIDIG_COMP_CNT: 0
; COMPUTE_PGM_RSRC3_GFX90A:ACCUM_OFFSET: 13
; COMPUTE_PGM_RSRC3_GFX90A:TG_SPLIT: 0
	.section	.text._ZL30rocblas_trtri_remainder_kernelILi16EdPKdPdEv13rocblas_fill_17rocblas_diagonal_iT1_lillT2_lilli,"axG",@progbits,_ZL30rocblas_trtri_remainder_kernelILi16EdPKdPdEv13rocblas_fill_17rocblas_diagonal_iT1_lillT2_lilli,comdat
	.globl	_ZL30rocblas_trtri_remainder_kernelILi16EdPKdPdEv13rocblas_fill_17rocblas_diagonal_iT1_lillT2_lilli ; -- Begin function _ZL30rocblas_trtri_remainder_kernelILi16EdPKdPdEv13rocblas_fill_17rocblas_diagonal_iT1_lillT2_lilli
	.p2align	8
	.type	_ZL30rocblas_trtri_remainder_kernelILi16EdPKdPdEv13rocblas_fill_17rocblas_diagonal_iT1_lillT2_lilli,@function
_ZL30rocblas_trtri_remainder_kernelILi16EdPKdPdEv13rocblas_fill_17rocblas_diagonal_iT1_lillT2_lilli: ; @_ZL30rocblas_trtri_remainder_kernelILi16EdPKdPdEv13rocblas_fill_17rocblas_diagonal_iT1_lillT2_lilli
; %bb.0:
	s_load_dwordx4 s[16:19], s[4:5], 0x0
	s_waitcnt lgkmcnt(0)
	s_cmp_lt_i32 s18, 1
	s_cbranch_scc1 .LBB7_46
; %bb.1:
	s_load_dwordx8 s[8:15], s[4:5], 0x28
	v_cmp_le_u32_e64 s[2:3], s18, v0
	v_cmp_gt_u32_e64 s[0:1], s18, v0
	s_and_saveexec_b64 s[24:25], s[0:1]
	s_cbranch_execz .LBB7_14
; %bb.2:
	s_load_dwordx4 s[20:23], s[4:5], 0x10
	s_load_dword s26, s[4:5], 0x20
	s_waitcnt lgkmcnt(0)
	s_mul_i32 s9, s7, s9
	s_mul_hi_u32 s19, s7, s8
	s_add_i32 s9, s19, s9
	s_mul_i32 s11, s6, s11
	s_mul_hi_u32 s19, s6, s10
	s_add_i32 s11, s19, s11
	s_mul_i32 s8, s7, s8
	s_mul_i32 s10, s6, s10
	s_cmpk_lg_i32 s16, 0x7a
	s_mov_b64 s[28:29], -1
	s_cbranch_scc0 .LBB7_6
; %bb.3:
	s_ashr_i32 s27, s26, 31
	s_lshl_b32 s19, s18, 3
	s_ashr_i32 s28, s18, 31
	s_add_u32 s30, s18, -1
	s_addc_u32 s28, s28, -1
	s_mul_i32 s29, s30, s27
	s_mul_hi_u32 s31, s30, s26
	s_add_i32 s29, s31, s29
	s_mul_i32 s28, s28, s26
	s_add_i32 s29, s29, s28
	s_mul_i32 s28, s30, s26
	s_lshl_b64 s[28:29], s[28:29], 3
	s_lshl_b64 s[30:31], s[10:11], 3
	s_add_u32 s30, s28, s30
	s_addc_u32 s31, s29, s31
	s_lshl_b64 s[28:29], s[8:9], 3
	s_add_u32 s30, s30, s28
	s_addc_u32 s31, s31, s29
	;; [unrolled: 3-line block ×3, first 2 shown]
	s_add_u32 s28, s20, s28
	s_addc_u32 s29, s21, s29
	s_lshl_b64 s[30:31], s[26:27], 3
	v_lshlrev_b32_e32 v2, 3, v0
	s_sub_u32 s27, 0, s30
	v_sub_u32_e32 v1, s19, v2
	v_mov_b32_e32 v3, s29
	v_add_co_u32_e32 v2, vcc, s28, v2
	s_subb_u32 s30, 0, s31
	v_add_u32_e32 v1, -8, v1
	v_addc_co_u32_e32 v3, vcc, 0, v3, vcc
	s_mov_b64 s[28:29], 0
	v_mov_b32_e32 v4, s30
	s_mov_b32 s30, s18
.LBB7_4:                                ; =>This Inner Loop Header: Depth=1
	global_load_dwordx2 v[6:7], v[2:3], off
	v_add_co_u32_e32 v2, vcc, s27, v2
	s_add_i32 s30, s30, -1
	v_addc_co_u32_e32 v3, vcc, v3, v4, vcc
	v_cmp_le_i32_e32 vcc, s30, v0
	s_or_b64 s[28:29], vcc, s[28:29]
	s_waitcnt vmcnt(0)
	ds_write_b64 v1, v[6:7]
	v_add_u32_e32 v1, s19, v1
	s_andn2_b64 exec, exec, s[28:29]
	s_cbranch_execnz .LBB7_4
; %bb.5:
	s_or_b64 exec, exec, s[28:29]
	s_mov_b64 s[28:29], 0
.LBB7_6:
	s_and_b64 vcc, exec, s[28:29]
	s_cbranch_vccz .LBB7_14
; %bb.7:
	v_mov_b32_e32 v1, 0
	s_ashr_i32 s27, s26, 31
	v_add_u32_e32 v4, 1, v0
	v_cmp_lt_u32_e32 vcc, 2, v0
	s_and_saveexec_b64 s[28:29], vcc
	s_cbranch_execz .LBB7_11
; %bb.8:
	s_lshl_b64 s[30:31], s[8:9], 3
	s_add_u32 s19, s20, s30
	s_addc_u32 s33, s21, s31
	s_lshl_b64 s[30:31], s[22:23], 3
	s_add_u32 s19, s19, s30
	s_addc_u32 s33, s33, s31
	;; [unrolled: 3-line block ×3, first 2 shown]
	v_lshlrev_b32_e32 v5, 3, v0
	v_mov_b32_e32 v1, s30
	v_add_co_u32_e32 v2, vcc, s19, v5
	s_mul_hi_i32 s44, s26, 24
	s_lshl_b64 s[30:31], s[26:27], 5
	s_lshl_b64 s[34:35], s[26:27], 4
	;; [unrolled: 1-line block ×3, first 2 shown]
	v_addc_co_u32_e32 v3, vcc, 0, v1, vcc
	v_and_b32_e32 v1, 0x7fc, v4
	s_mul_i32 s19, s26, 24
	s_lshl_b32 s33, s18, 3
	s_lshl_b32 s40, s18, 5
	s_lshl_b32 s41, s18, 4
	s_mul_i32 s42, s18, 24
	s_mov_b32 s43, 0
	s_mov_b64 s[38:39], 0
	v_mov_b32_e32 v6, s37
	v_mov_b32_e32 v7, s35
	;; [unrolled: 1-line block ×4, first 2 shown]
.LBB7_9:                                ; =>This Inner Loop Header: Depth=1
	v_add_co_u32_e32 v12, vcc, s36, v2
	v_addc_co_u32_e32 v13, vcc, v3, v6, vcc
	v_add_co_u32_e32 v14, vcc, s34, v2
	v_addc_co_u32_e32 v15, vcc, v3, v7, vcc
	global_load_dwordx2 v[10:11], v[2:3], off
	v_add_co_u32_e32 v16, vcc, s19, v2
	v_addc_co_u32_e32 v17, vcc, v3, v8, vcc
	global_load_dwordx2 v[18:19], v[12:13], off
	global_load_dwordx2 v[20:21], v[14:15], off
	;; [unrolled: 1-line block ×3, first 2 shown]
	v_add_co_u32_e32 v2, vcc, s30, v2
	s_add_i32 s43, s43, 4
	v_addc_co_u32_e32 v3, vcc, v3, v9, vcc
	v_cmp_eq_u32_e32 vcc, s43, v1
	v_add_u32_e32 v12, s33, v5
	v_add_u32_e32 v13, s41, v5
	;; [unrolled: 1-line block ×3, first 2 shown]
	s_or_b64 s[38:39], vcc, s[38:39]
	s_waitcnt vmcnt(3)
	ds_write_b64 v5, v[10:11]
	v_add_u32_e32 v5, s40, v5
	s_waitcnt vmcnt(2)
	ds_write_b64 v12, v[18:19]
	s_waitcnt vmcnt(1)
	ds_write_b64 v13, v[20:21]
	s_waitcnt vmcnt(0)
	ds_write_b64 v14, v[22:23]
	s_andn2_b64 exec, exec, s[38:39]
	s_cbranch_execnz .LBB7_9
; %bb.10:
	s_or_b64 exec, exec, s[38:39]
.LBB7_11:
	s_or_b64 exec, exec, s[28:29]
	v_and_b32_e32 v4, 3, v4
	v_cmp_ne_u32_e32 vcc, 0, v4
	s_and_b64 exec, exec, vcc
	s_cbranch_execz .LBB7_14
; %bb.12:
	s_lshl_b32 s19, s18, 3
	s_lshl_b64 s[10:11], s[10:11], 3
	s_lshl_b64 s[8:9], s[8:9], 3
	v_mul_lo_u32 v2, v1, s18
	s_add_u32 s10, s10, s8
	v_add_lshl_u32 v5, v0, v2, 3
	s_addc_u32 s11, s11, s9
	v_mad_i64_i32 v[2:3], s[8:9], s26, v1, 0
	s_lshl_b64 s[8:9], s[22:23], 3
	s_add_u32 s8, s8, s10
	v_lshlrev_b64 v[2:3], 3, v[2:3]
	s_addc_u32 s9, s9, s11
	v_mov_b32_e32 v1, s9
	v_add_co_u32_e32 v2, vcc, s8, v2
	v_addc_co_u32_e32 v1, vcc, v1, v3, vcc
	v_lshlrev_b32_e32 v3, 3, v0
	v_add_co_u32_e32 v2, vcc, v2, v3
	v_addc_co_u32_e32 v1, vcc, 0, v1, vcc
	v_mov_b32_e32 v3, s21
	v_add_co_u32_e32 v2, vcc, s20, v2
	s_lshl_b64 s[8:9], s[26:27], 3
	v_addc_co_u32_e32 v3, vcc, v3, v1, vcc
	s_mov_b64 s[10:11], 0
	v_mov_b32_e32 v1, s9
.LBB7_13:                               ; =>This Inner Loop Header: Depth=1
	global_load_dwordx2 v[6:7], v[2:3], off
	v_add_co_u32_e32 v2, vcc, s8, v2
	v_addc_co_u32_e32 v3, vcc, v3, v1, vcc
	v_add_u32_e32 v4, -1, v4
	v_cmp_eq_u32_e32 vcc, 0, v4
	s_or_b64 s[10:11], vcc, s[10:11]
	s_waitcnt vmcnt(0)
	ds_write_b64 v5, v[6:7]
	v_add_u32_e32 v5, s19, v5
	s_andn2_b64 exec, exec, s[10:11]
	s_cbranch_execnz .LBB7_13
.LBB7_14:
	s_or_b64 exec, exec, s[24:25]
	s_waitcnt lgkmcnt(0)
	s_barrier
	s_waitcnt lgkmcnt(0)
                                        ; implicit-def: $vgpr2
	s_and_saveexec_b64 s[8:9], s[2:3]
	s_xor_b64 s[2:3], exec, s[8:9]
; %bb.15:
	v_mad_u64_u32 v[2:3], s[8:9], v0, s18, v[0:1]
; %bb.16:
	s_andn2_saveexec_b64 s[2:3], s[2:3]
	s_cbranch_execz .LBB7_22
; %bb.17:
	v_mad_u64_u32 v[2:3], s[8:9], v0, s18, v[0:1]
	v_mov_b32_e32 v6, 0
	s_cmpk_eq_i32 s17, 0x84
	v_lshlrev_b32_e32 v1, 3, v2
	v_mov_b32_e32 v7, 0x3ff00000
	s_cbranch_scc1 .LBB7_21
; %bb.18:
	ds_read_b64 v[4:5], v1
	v_mov_b32_e32 v6, 0
	v_mov_b32_e32 v7, 0x3ff00000
	s_waitcnt lgkmcnt(0)
	v_cmp_neq_f64_e32 vcc, 0, v[4:5]
	s_and_saveexec_b64 s[8:9], vcc
; %bb.19:
	v_div_scale_f64 v[6:7], s[10:11], v[4:5], v[4:5], 1.0
	v_rcp_f64_e32 v[8:9], v[6:7]
	v_div_scale_f64 v[10:11], vcc, 1.0, v[4:5], 1.0
	v_fma_f64 v[12:13], -v[6:7], v[8:9], 1.0
	v_fmac_f64_e32 v[8:9], v[8:9], v[12:13]
	v_fma_f64 v[12:13], -v[6:7], v[8:9], 1.0
	v_fmac_f64_e32 v[8:9], v[8:9], v[12:13]
	v_mul_f64 v[12:13], v[10:11], v[8:9]
	v_fma_f64 v[6:7], -v[6:7], v[12:13], v[10:11]
	v_div_fmas_f64 v[6:7], v[6:7], v[8:9], v[12:13]
	v_div_fixup_f64 v[6:7], v[6:7], v[4:5], 1.0
; %bb.20:
	s_or_b64 exec, exec, s[8:9]
.LBB7_21:
	ds_write_b64 v1, v[6:7]
.LBB7_22:
	s_or_b64 exec, exec, s[2:3]
	s_lshl_b32 s19, s18, 3
	v_lshlrev_b32_e32 v1, 3, v2
	s_mov_b32 s8, 8
	s_add_i32 s9, s19, 8
	v_add_lshl_u32 v4, v0, s18, 3
	s_mov_b32 s10, 0
	s_waitcnt lgkmcnt(0)
	s_barrier
	s_branch .LBB7_24
.LBB7_23:                               ;   in Loop: Header=BB7_24 Depth=1
	s_add_i32 s8, s8, s9
	s_cmp_eq_u32 s10, s18
	v_add_u32_e32 v4, s19, v4
	s_barrier
	s_cbranch_scc1 .LBB7_33
.LBB7_24:                               ; =>This Loop Header: Depth=1
                                        ;     Child Loop BB7_29 Depth 2
	s_mul_i32 s11, s10, s18
	v_cmp_lt_u32_e32 vcc, s10, v0
	v_pk_mov_b32 v[2:3], 0, 0
	v_add_lshl_u32 v5, s11, v0, 3
	s_and_saveexec_b64 s[2:3], vcc
	s_cbranch_execz .LBB7_26
; %bb.25:                               ;   in Loop: Header=BB7_24 Depth=1
	s_add_i32 s11, s11, s10
	s_lshl_b32 s11, s11, 3
	v_mov_b32_e32 v6, s11
	ds_read_b64 v[2:3], v5
	ds_read_b64 v[6:7], v6
	s_waitcnt lgkmcnt(0)
	v_fma_f64 v[2:3], v[2:3], v[6:7], 0
.LBB7_26:                               ;   in Loop: Header=BB7_24 Depth=1
	s_or_b64 exec, exec, s[2:3]
	s_add_i32 s10, s10, 1
	s_cmp_ge_i32 s10, s18
	s_barrier
	s_cbranch_scc1 .LBB7_23
; %bb.27:                               ;   in Loop: Header=BB7_24 Depth=1
	v_mov_b32_e32 v6, v4
	s_mov_b32 s11, s8
	s_mov_b32 s17, s10
	s_branch .LBB7_29
.LBB7_28:                               ;   in Loop: Header=BB7_29 Depth=2
	s_or_b64 exec, exec, s[2:3]
	s_add_i32 s17, s17, 1
	s_add_i32 s11, s11, 8
	s_cmp_ge_i32 s17, s18
	v_add_u32_e32 v6, s19, v6
	s_barrier
	s_cbranch_scc1 .LBB7_23
.LBB7_29:                               ;   Parent Loop BB7_24 Depth=1
                                        ; =>  This Inner Loop Header: Depth=2
	v_cmp_eq_u32_e32 vcc, s17, v0
	s_and_saveexec_b64 s[2:3], vcc
	s_cbranch_execz .LBB7_31
; %bb.30:                               ;   in Loop: Header=BB7_29 Depth=2
	ds_read_b64 v[8:9], v1
	v_add_f64 v[10:11], -v[2:3], 0
	s_waitcnt lgkmcnt(0)
	v_mul_f64 v[8:9], v[10:11], v[8:9]
	ds_write_b64 v5, v[8:9]
.LBB7_31:                               ;   in Loop: Header=BB7_29 Depth=2
	s_or_b64 exec, exec, s[2:3]
	v_cmp_lt_u32_e32 vcc, s17, v0
	s_waitcnt lgkmcnt(0)
	s_barrier
	s_and_saveexec_b64 s[2:3], vcc
	s_cbranch_execz .LBB7_28
; %bb.32:                               ;   in Loop: Header=BB7_29 Depth=2
	v_mov_b32_e32 v7, s11
	ds_read_b64 v[8:9], v6
	ds_read_b64 v[10:11], v7
	s_waitcnt lgkmcnt(0)
	v_fmac_f64_e32 v[2:3], v[8:9], v[10:11]
	s_branch .LBB7_28
.LBB7_33:
	s_and_saveexec_b64 s[2:3], s[0:1]
	s_cbranch_execz .LBB7_46
; %bb.34:
	s_load_dwordx4 s[8:11], s[4:5], 0x50
	s_load_dword s0, s[4:5], 0x48
	v_lshlrev_b32_e32 v1, 3, v0
	s_waitcnt lgkmcnt(0)
	s_mul_i32 s1, s7, s9
	s_mul_hi_u32 s3, s7, s8
	s_mul_i32 s4, s6, s11
	s_add_i32 s3, s3, s1
	s_mul_hi_u32 s1, s6, s10
	s_add_i32 s5, s1, s4
	s_mul_i32 s2, s7, s8
	s_mul_i32 s4, s6, s10
	s_mov_b64 s[6:7], -1
	s_cmpk_lg_i32 s16, 0x7a
	s_cbranch_scc0 .LBB7_38
; %bb.35:
	s_add_i32 s10, s18, -1
	s_ashr_i32 s1, s0, 31
	s_lshl_b64 s[6:7], s[4:5], 3
	s_lshl_b64 s[8:9], s[2:3], 3
	s_add_u32 s8, s6, s8
	s_addc_u32 s9, s7, s9
	s_mul_i32 s6, s1, s10
	s_mul_hi_u32 s7, s0, s10
	s_add_i32 s7, s7, s6
	s_mul_i32 s6, s0, s10
	s_lshl_b64 s[6:7], s[6:7], 3
	s_add_u32 s8, s8, s6
	s_addc_u32 s9, s9, s7
	s_lshl_b64 s[6:7], s[14:15], 3
	s_add_u32 s6, s8, s6
	s_addc_u32 s7, s9, s7
	s_add_u32 s6, s12, s6
	s_addc_u32 s7, s13, s7
	s_lshl_b64 s[8:9], s[0:1], 3
	v_lshlrev_b32_e32 v4, 3, v0
	s_sub_u32 s1, 0, s8
	v_mov_b32_e32 v3, s7
	v_add_co_u32_e32 v2, vcc, s6, v4
	s_subb_u32 s8, 0, s9
	v_sub_u32_e32 v4, s19, v4
	v_addc_co_u32_e32 v3, vcc, 0, v3, vcc
	s_mov_b64 s[6:7], 0
	v_add_u32_e32 v4, -8, v4
	v_mov_b32_e32 v5, s8
	s_mov_b32 s8, s18
.LBB7_36:                               ; =>This Inner Loop Header: Depth=1
	ds_read_b64 v[6:7], v4
	s_add_i32 s8, s8, -1
	v_cmp_le_i32_e32 vcc, s8, v0
	s_or_b64 s[6:7], vcc, s[6:7]
	v_add_u32_e32 v4, s19, v4
	s_waitcnt lgkmcnt(0)
	global_store_dwordx2 v[2:3], v[6:7], off
	v_add_co_u32_e32 v2, vcc, s1, v2
	v_addc_co_u32_e32 v3, vcc, v3, v5, vcc
	s_andn2_b64 exec, exec, s[6:7]
	s_cbranch_execnz .LBB7_36
; %bb.37:
	s_or_b64 exec, exec, s[6:7]
	s_mov_b64 s[6:7], 0
.LBB7_38:
	s_and_b64 vcc, exec, s[6:7]
	s_cbranch_vccz .LBB7_46
; %bb.39:
	v_mov_b32_e32 v4, 0
	s_ashr_i32 s1, s0, 31
	v_add_u32_e32 v5, 1, v0
	v_cmp_lt_u32_e32 vcc, 2, v0
	s_and_saveexec_b64 s[6:7], vcc
	s_cbranch_execz .LBB7_43
; %bb.40:
	s_lshl_b64 s[8:9], s[2:3], 3
	s_add_u32 s10, s12, s8
	s_addc_u32 s11, s13, s9
	s_lshl_b64 s[8:9], s[14:15], 3
	s_add_u32 s10, s10, s8
	s_addc_u32 s11, s11, s9
	;; [unrolled: 3-line block ×3, first 2 shown]
	v_mov_b32_e32 v3, s9
	v_add_co_u32_e32 v2, vcc, s8, v1
	s_mul_hi_i32 s27, s0, 24
	s_lshl_b64 s[8:9], s[0:1], 5
	s_lshl_b64 s[10:11], s[0:1], 4
	;; [unrolled: 1-line block ×3, first 2 shown]
	v_addc_co_u32_e32 v3, vcc, 0, v3, vcc
	v_and_b32_e32 v4, 0x7fc, v5
	s_mul_i32 s22, s0, 24
	s_lshl_b32 s23, s18, 5
	s_lshl_b32 s24, s18, 4
	s_mul_i32 s25, s18, 24
	s_mov_b32 s26, 0
	s_mov_b64 s[20:21], 0
	v_mov_b32_e32 v6, s17
	v_mov_b32_e32 v7, s11
	;; [unrolled: 1-line block ×5, first 2 shown]
.LBB7_41:                               ; =>This Inner Loop Header: Depth=1
	v_add_co_u32_e32 v14, vcc, s16, v2
	v_addc_co_u32_e32 v15, vcc, v3, v6, vcc
	ds_read_b64 v[12:13], v10
	v_add_co_u32_e32 v16, vcc, s10, v2
	v_add_u32_e32 v11, s19, v10
	v_add_u32_e32 v22, s24, v10
	v_addc_co_u32_e32 v17, vcc, v3, v7, vcc
	v_add_u32_e32 v24, s25, v10
	v_add_co_u32_e32 v18, vcc, s22, v2
	ds_read_b64 v[20:21], v11
	ds_read_b64 v[22:23], v22
	;; [unrolled: 1-line block ×3, first 2 shown]
	v_addc_co_u32_e32 v19, vcc, v3, v8, vcc
	s_add_i32 s26, s26, 4
	v_cmp_eq_u32_e32 vcc, s26, v4
	s_or_b64 s[20:21], vcc, s[20:21]
	s_waitcnt lgkmcnt(3)
	global_store_dwordx2 v[2:3], v[12:13], off
	v_add_co_u32_e32 v2, vcc, s8, v2
	v_add_u32_e32 v10, s23, v10
	v_addc_co_u32_e32 v3, vcc, v3, v9, vcc
	s_waitcnt lgkmcnt(2)
	global_store_dwordx2 v[14:15], v[20:21], off
	s_waitcnt lgkmcnt(1)
	global_store_dwordx2 v[16:17], v[22:23], off
	;; [unrolled: 2-line block ×3, first 2 shown]
	s_andn2_b64 exec, exec, s[20:21]
	s_cbranch_execnz .LBB7_41
; %bb.42:
	s_or_b64 exec, exec, s[20:21]
.LBB7_43:
	s_or_b64 exec, exec, s[6:7]
	v_and_b32_e32 v5, 3, v5
	v_cmp_ne_u32_e32 vcc, 0, v5
	s_and_b64 exec, exec, vcc
	s_cbranch_execz .LBB7_46
; %bb.44:
	s_lshl_b64 s[4:5], s[4:5], 3
	s_lshl_b64 s[2:3], s[2:3], 3
	s_add_u32 s4, s4, s2
	s_addc_u32 s5, s5, s3
	v_mad_i64_i32 v[2:3], s[2:3], s0, v4, 0
	s_lshl_b64 s[2:3], s[14:15], 3
	s_add_u32 s2, s2, s4
	v_lshlrev_b64 v[2:3], 3, v[2:3]
	s_addc_u32 s3, s3, s5
	v_mov_b32_e32 v6, s3
	v_add_co_u32_e32 v2, vcc, s2, v2
	v_addc_co_u32_e32 v3, vcc, v6, v3, vcc
	v_add_co_u32_e32 v1, vcc, v2, v1
	v_addc_co_u32_e32 v3, vcc, 0, v3, vcc
	v_mov_b32_e32 v6, s13
	v_add_co_u32_e32 v2, vcc, s12, v1
	s_lshl_b64 s[0:1], s[0:1], 3
	v_mul_lo_u32 v1, v4, s18
	v_addc_co_u32_e32 v3, vcc, v6, v3, vcc
	v_add_lshl_u32 v0, v0, v1, 3
	s_mov_b64 s[2:3], 0
	v_mov_b32_e32 v1, s1
.LBB7_45:                               ; =>This Inner Loop Header: Depth=1
	ds_read_b64 v[6:7], v0
	v_add_u32_e32 v5, -1, v5
	v_cmp_eq_u32_e32 vcc, 0, v5
	s_or_b64 s[2:3], vcc, s[2:3]
	v_add_u32_e32 v0, s19, v0
	s_waitcnt lgkmcnt(0)
	global_store_dwordx2 v[2:3], v[6:7], off
	v_add_co_u32_e32 v2, vcc, s0, v2
	v_addc_co_u32_e32 v3, vcc, v3, v1, vcc
	s_andn2_b64 exec, exec, s[2:3]
	s_cbranch_execnz .LBB7_45
.LBB7_46:
	s_endpgm
	.section	.rodata,"a",@progbits
	.p2align	6, 0x0
	.amdhsa_kernel _ZL30rocblas_trtri_remainder_kernelILi16EdPKdPdEv13rocblas_fill_17rocblas_diagonal_iT1_lillT2_lilli
		.amdhsa_group_segment_fixed_size 8192
		.amdhsa_private_segment_fixed_size 0
		.amdhsa_kernarg_size 100
		.amdhsa_user_sgpr_count 6
		.amdhsa_user_sgpr_private_segment_buffer 1
		.amdhsa_user_sgpr_dispatch_ptr 0
		.amdhsa_user_sgpr_queue_ptr 0
		.amdhsa_user_sgpr_kernarg_segment_ptr 1
		.amdhsa_user_sgpr_dispatch_id 0
		.amdhsa_user_sgpr_flat_scratch_init 0
		.amdhsa_user_sgpr_kernarg_preload_length 0
		.amdhsa_user_sgpr_kernarg_preload_offset 0
		.amdhsa_user_sgpr_private_segment_size 0
		.amdhsa_uses_dynamic_stack 0
		.amdhsa_system_sgpr_private_segment_wavefront_offset 0
		.amdhsa_system_sgpr_workgroup_id_x 1
		.amdhsa_system_sgpr_workgroup_id_y 0
		.amdhsa_system_sgpr_workgroup_id_z 1
		.amdhsa_system_sgpr_workgroup_info 0
		.amdhsa_system_vgpr_workitem_id 0
		.amdhsa_next_free_vgpr 26
		.amdhsa_next_free_sgpr 45
		.amdhsa_accum_offset 28
		.amdhsa_reserve_vcc 1
		.amdhsa_reserve_flat_scratch 0
		.amdhsa_float_round_mode_32 0
		.amdhsa_float_round_mode_16_64 0
		.amdhsa_float_denorm_mode_32 3
		.amdhsa_float_denorm_mode_16_64 3
		.amdhsa_dx10_clamp 1
		.amdhsa_ieee_mode 1
		.amdhsa_fp16_overflow 0
		.amdhsa_tg_split 0
		.amdhsa_exception_fp_ieee_invalid_op 0
		.amdhsa_exception_fp_denorm_src 0
		.amdhsa_exception_fp_ieee_div_zero 0
		.amdhsa_exception_fp_ieee_overflow 0
		.amdhsa_exception_fp_ieee_underflow 0
		.amdhsa_exception_fp_ieee_inexact 0
		.amdhsa_exception_int_div_zero 0
	.end_amdhsa_kernel
	.section	.text._ZL30rocblas_trtri_remainder_kernelILi16EdPKdPdEv13rocblas_fill_17rocblas_diagonal_iT1_lillT2_lilli,"axG",@progbits,_ZL30rocblas_trtri_remainder_kernelILi16EdPKdPdEv13rocblas_fill_17rocblas_diagonal_iT1_lillT2_lilli,comdat
.Lfunc_end7:
	.size	_ZL30rocblas_trtri_remainder_kernelILi16EdPKdPdEv13rocblas_fill_17rocblas_diagonal_iT1_lillT2_lilli, .Lfunc_end7-_ZL30rocblas_trtri_remainder_kernelILi16EdPKdPdEv13rocblas_fill_17rocblas_diagonal_iT1_lillT2_lilli
                                        ; -- End function
	.section	.AMDGPU.csdata,"",@progbits
; Kernel info:
; codeLenInByte = 2036
; NumSgprs: 49
; NumVgprs: 26
; NumAgprs: 0
; TotalNumVgprs: 26
; ScratchSize: 0
; MemoryBound: 0
; FloatMode: 240
; IeeeMode: 1
; LDSByteSize: 8192 bytes/workgroup (compile time only)
; SGPRBlocks: 6
; VGPRBlocks: 3
; NumSGPRsForWavesPerEU: 49
; NumVGPRsForWavesPerEU: 26
; AccumOffset: 28
; Occupancy: 8
; WaveLimiterHint : 0
; COMPUTE_PGM_RSRC2:SCRATCH_EN: 0
; COMPUTE_PGM_RSRC2:USER_SGPR: 6
; COMPUTE_PGM_RSRC2:TRAP_HANDLER: 0
; COMPUTE_PGM_RSRC2:TGID_X_EN: 1
; COMPUTE_PGM_RSRC2:TGID_Y_EN: 0
; COMPUTE_PGM_RSRC2:TGID_Z_EN: 1
; COMPUTE_PGM_RSRC2:TIDIG_COMP_CNT: 0
; COMPUTE_PGM_RSRC3_GFX90A:ACCUM_OFFSET: 6
; COMPUTE_PGM_RSRC3_GFX90A:TG_SPLIT: 0
	.section	.text._ZL18rocblas_trtri_fillILi128E19rocblas_complex_numIfEPS1_EvP15_rocblas_handle13rocblas_fill_ililT1_llii,"axG",@progbits,_ZL18rocblas_trtri_fillILi128E19rocblas_complex_numIfEPS1_EvP15_rocblas_handle13rocblas_fill_ililT1_llii,comdat
	.globl	_ZL18rocblas_trtri_fillILi128E19rocblas_complex_numIfEPS1_EvP15_rocblas_handle13rocblas_fill_ililT1_llii ; -- Begin function _ZL18rocblas_trtri_fillILi128E19rocblas_complex_numIfEPS1_EvP15_rocblas_handle13rocblas_fill_ililT1_llii
	.p2align	8
	.type	_ZL18rocblas_trtri_fillILi128E19rocblas_complex_numIfEPS1_EvP15_rocblas_handle13rocblas_fill_ililT1_llii,@function
_ZL18rocblas_trtri_fillILi128E19rocblas_complex_numIfEPS1_EvP15_rocblas_handle13rocblas_fill_ililT1_llii: ; @_ZL18rocblas_trtri_fillILi128E19rocblas_complex_numIfEPS1_EvP15_rocblas_handle13rocblas_fill_ililT1_llii
; %bb.0:
	s_load_dword s1, s[4:5], 0x40
	s_load_dwordx2 s[2:3], s[4:5], 0x10
	s_mov_b32 s0, s6
	s_waitcnt lgkmcnt(0)
	s_ashr_i32 s6, s1, 31
	s_mul_i32 s8, s1, s3
	s_mul_hi_u32 s9, s1, s2
	s_mul_i32 s16, s1, s2
	s_mov_b32 s1, 0
	s_add_i32 s8, s9, s8
	s_mul_i32 s6, s6, s2
	s_lshl_b64 s[0:1], s[0:1], 7
	s_add_i32 s17, s8, s6
	v_or_b32_e32 v0, s0, v0
	v_mov_b32_e32 v1, s1
	v_cmp_gt_u64_e32 vcc, s[16:17], v[0:1]
	s_and_saveexec_b64 s[0:1], vcc
	s_cbranch_execz .LBB8_16
; %bb.1:
	v_cvt_f32_u32_e32 v5, s2
	v_cvt_f32_u32_e32 v6, s3
	s_load_dword s18, s[4:5], 0x18
	s_load_dwordx8 s[8:15], s[4:5], 0x20
	s_load_dwordx2 s[20:21], s[4:5], 0x8
	v_mov_b32_e32 v4, 0
	v_mov_b32_e32 v15, 0x260
	v_mac_f32_e32 v5, 0x4f800000, v6
	s_waitcnt lgkmcnt(0)
	s_mul_i32 s0, s7, s15
	s_mul_hi_u32 s1, s7, s14
	v_rcp_f32_e32 v5, v5
	v_cvt_f32_u32_e32 v6, s2
	s_add_i32 s1, s1, s0
	s_mul_i32 s0, s7, s14
	s_ashr_i32 s19, s18, 31
	s_lshl_b64 s[0:1], s[0:1], 3
	s_add_u32 s6, s10, s0
	s_addc_u32 s7, s11, s1
	s_lshl_b64 s[0:1], s[12:13], 3
	v_mul_f32_e32 v5, 0x5f7ffffc, v5
	v_rcp_iflag_f32_e32 v6, v6
	s_add_u32 s14, s6, s0
	v_mul_f32_e32 v7, 0x2f800000, v5
	s_addc_u32 s15, s7, s1
	s_add_i32 s0, s21, -2
	s_load_dword s6, s[4:5], 0x48
	s_load_dword s7, s[4:5], 0x54
	v_trunc_f32_e32 v7, v7
	v_cvt_f64_i32_e32 v[2:3], s0
	s_add_i32 s0, s21, -1
	v_mac_f32_e32 v5, 0xcf800000, v7
	s_mul_hi_i32 s1, s0, s21
	s_mul_i32 s0, s0, s21
	v_cvt_u32_f32_e32 v12, v5
	v_mul_f32_e32 v5, 0x4f7ffffe, v6
	s_ashr_i32 s22, s21, 31
	s_lshl_b64 s[4:5], s[0:1], 2
	v_cvt_u32_f32_e32 v13, v7
	v_cvt_u32_f32_e32 v14, v5
	s_mov_b32 s23, s21
	s_add_u32 s21, s4, -7
	s_addc_u32 s24, s5, -1
	s_lshr_b64 s[4:5], s[0:1], 1
	s_waitcnt lgkmcnt(0)
	s_and_b32 s0, s7, 0xffff
	s_mov_b32 s10, 0
	s_mul_hi_u32 s25, s0, s6
	s_mul_i32 s26, s0, s6
	s_mov_b64 s[6:7], 0
	s_brev_b32 s11, 8
	s_movk_i32 s27, 0xffe0
	v_mov_b32_e32 v16, 0xffffff80
	s_branch .LBB8_3
.LBB8_2:                                ;   in Loop: Header=BB8_3 Depth=1
	v_mov_b32_e32 v5, s25
	v_add_co_u32_e32 v0, vcc, s26, v0
	v_addc_co_u32_e32 v1, vcc, v1, v5, vcc
	v_cmp_le_u64_e32 vcc, s[16:17], v[0:1]
	s_or_b64 s[6:7], vcc, s[6:7]
	s_andn2_b64 exec, exec, s[6:7]
	s_cbranch_execz .LBB8_16
.LBB8_3:                                ; =>This Inner Loop Header: Depth=1
	v_or_b32_e32 v5, s3, v1
	v_cmp_ne_u64_e32 vcc, 0, v[4:5]
                                        ; implicit-def: $vgpr6_vgpr7
	s_and_saveexec_b64 s[0:1], vcc
	s_xor_b64 s[12:13], exec, s[0:1]
	s_cbranch_execz .LBB8_5
; %bb.4:                                ;   in Loop: Header=BB8_3 Depth=1
	s_sub_u32 s0, 0, s2
	s_subb_u32 s1, 0, s3
	v_mul_hi_u32 v6, s0, v12
	v_mul_lo_u32 v7, s0, v13
	v_mul_lo_u32 v5, s1, v12
	v_add_u32_e32 v6, v6, v7
	v_add_u32_e32 v5, v6, v5
	v_mul_lo_u32 v8, s0, v12
	v_mul_lo_u32 v7, v12, v5
	v_mul_hi_u32 v9, v12, v8
	v_mul_hi_u32 v6, v12, v5
	v_add_co_u32_e32 v7, vcc, v9, v7
	v_addc_co_u32_e32 v6, vcc, 0, v6, vcc
	v_mul_hi_u32 v10, v13, v8
	v_mul_lo_u32 v8, v13, v8
	v_add_co_u32_e32 v7, vcc, v7, v8
	v_mul_hi_u32 v9, v13, v5
	v_addc_co_u32_e32 v6, vcc, v6, v10, vcc
	v_addc_co_u32_e32 v7, vcc, 0, v9, vcc
	v_mul_lo_u32 v5, v13, v5
	v_add_co_u32_e32 v5, vcc, v6, v5
	v_addc_co_u32_e32 v6, vcc, 0, v7, vcc
	v_add_co_u32_e32 v5, vcc, v12, v5
	v_addc_co_u32_e32 v6, vcc, v13, v6, vcc
	v_mul_lo_u32 v7, s0, v6
	v_mul_hi_u32 v8, s0, v5
	v_add_u32_e32 v7, v8, v7
	v_mul_lo_u32 v8, s1, v5
	v_add_u32_e32 v7, v7, v8
	v_mul_lo_u32 v9, s0, v5
	v_mul_hi_u32 v10, v6, v9
	v_mul_lo_u32 v11, v6, v9
	v_mul_lo_u32 v18, v5, v7
	v_mul_hi_u32 v9, v5, v9
	v_mul_hi_u32 v17, v5, v7
	v_add_co_u32_e32 v9, vcc, v9, v18
	v_addc_co_u32_e32 v17, vcc, 0, v17, vcc
	v_add_co_u32_e32 v9, vcc, v9, v11
	v_mul_hi_u32 v8, v6, v7
	v_addc_co_u32_e32 v9, vcc, v17, v10, vcc
	v_addc_co_u32_e32 v8, vcc, 0, v8, vcc
	v_mul_lo_u32 v7, v6, v7
	v_add_co_u32_e32 v7, vcc, v9, v7
	v_addc_co_u32_e32 v8, vcc, 0, v8, vcc
	v_add_co_u32_e32 v5, vcc, v5, v7
	v_addc_co_u32_e32 v8, vcc, v6, v8, vcc
	v_mad_u64_u32 v[6:7], s[0:1], v0, v8, 0
	v_mul_hi_u32 v9, v0, v5
	v_add_co_u32_e32 v10, vcc, v9, v6
	v_addc_co_u32_e32 v11, vcc, 0, v7, vcc
	v_mad_u64_u32 v[6:7], s[0:1], v1, v8, 0
	v_mad_u64_u32 v[8:9], s[0:1], v1, v5, 0
	v_add_co_u32_e32 v5, vcc, v10, v8
	v_addc_co_u32_e32 v5, vcc, v11, v9, vcc
	v_addc_co_u32_e32 v7, vcc, 0, v7, vcc
	v_add_co_u32_e32 v5, vcc, v5, v6
	v_addc_co_u32_e32 v8, vcc, 0, v7, vcc
	v_mul_lo_u32 v9, s3, v5
	v_mul_lo_u32 v10, s2, v8
	v_mad_u64_u32 v[6:7], s[0:1], s2, v5, 0
	v_add3_u32 v7, v7, v10, v9
	v_sub_u32_e32 v9, v1, v7
	v_mov_b32_e32 v10, s3
	v_sub_co_u32_e32 v6, vcc, v0, v6
	v_subb_co_u32_e64 v9, s[0:1], v9, v10, vcc
	v_subrev_co_u32_e64 v10, s[0:1], s2, v6
	v_subbrev_co_u32_e64 v9, s[0:1], 0, v9, s[0:1]
	v_cmp_le_u32_e64 s[0:1], s3, v9
	v_cndmask_b32_e64 v11, 0, -1, s[0:1]
	v_cmp_le_u32_e64 s[0:1], s2, v10
	v_cndmask_b32_e64 v10, 0, -1, s[0:1]
	v_cmp_eq_u32_e64 s[0:1], s3, v9
	v_cndmask_b32_e64 v9, v11, v10, s[0:1]
	v_add_co_u32_e64 v10, s[0:1], 2, v5
	v_addc_co_u32_e64 v11, s[0:1], 0, v8, s[0:1]
	v_add_co_u32_e64 v17, s[0:1], 1, v5
	v_addc_co_u32_e64 v18, s[0:1], 0, v8, s[0:1]
	v_subb_co_u32_e32 v7, vcc, v1, v7, vcc
	v_cmp_ne_u32_e64 s[0:1], 0, v9
	v_cmp_le_u32_e32 vcc, s3, v7
	v_cndmask_b32_e64 v9, v18, v11, s[0:1]
	v_cndmask_b32_e64 v11, 0, -1, vcc
	v_cmp_le_u32_e32 vcc, s2, v6
	v_cndmask_b32_e64 v6, 0, -1, vcc
	v_cmp_eq_u32_e32 vcc, s3, v7
	v_cndmask_b32_e32 v6, v11, v6, vcc
	v_cmp_ne_u32_e32 vcc, 0, v6
	v_cndmask_b32_e64 v6, v17, v10, s[0:1]
	v_cndmask_b32_e32 v7, v8, v9, vcc
	v_cndmask_b32_e32 v6, v5, v6, vcc
.LBB8_5:                                ;   in Loop: Header=BB8_3 Depth=1
	s_andn2_saveexec_b64 s[0:1], s[12:13]
	s_cbranch_execz .LBB8_7
; %bb.6:                                ;   in Loop: Header=BB8_3 Depth=1
	s_sub_i32 s12, 0, s2
	v_mul_lo_u32 v5, s12, v14
	v_mul_hi_u32 v5, v14, v5
	v_add_u32_e32 v5, v14, v5
	v_mul_hi_u32 v5, v0, v5
	v_mul_lo_u32 v6, v5, s2
	v_sub_u32_e32 v6, v0, v6
	v_subrev_u32_e32 v7, s2, v6
	v_cmp_le_u32_e32 vcc, s2, v6
	v_cndmask_b32_e32 v6, v6, v7, vcc
	v_add_u32_e32 v7, 1, v5
	v_cndmask_b32_e32 v5, v5, v7, vcc
	v_add_u32_e32 v7, 1, v5
	v_cmp_le_u32_e32 vcc, s2, v6
	v_cndmask_b32_e32 v6, v5, v7, vcc
	v_mov_b32_e32 v7, v4
.LBB8_7:                                ;   in Loop: Header=BB8_3 Depth=1
	s_or_b64 exec, exec, s[0:1]
	v_mul_lo_u32 v5, v7, s2
	v_mul_lo_u32 v10, v6, s3
	v_mad_u64_u32 v[8:9], s[0:1], v6, s2, 0
	v_add3_u32 v5, v9, v10, v5
	v_sub_co_u32_e32 v8, vcc, v0, v8
	s_cmpk_lt_i32 s20, 0x7a
	v_subb_co_u32_e32 v9, vcc, v1, v5, vcc
	s_cbranch_scc1 .LBB8_10
; %bb.8:                                ;   in Loop: Header=BB8_3 Depth=1
	s_mov_b64 s[0:1], 0
	s_cmpk_eq_i32 s20, 0x7a
	s_mov_b64 s[12:13], 0
                                        ; implicit-def: $vgpr10_vgpr11
	s_cbranch_scc0 .LBB8_11
; %bb.9:                                ;   in Loop: Header=BB8_3 Depth=1
	v_lshlrev_b64 v[10:11], 3, v[8:9]
	v_mov_b32_e32 v5, s24
	v_sub_co_u32_e32 v17, vcc, s21, v10
	v_subb_co_u32_e32 v5, vcc, v5, v11, vcc
	v_cvt_f64_u32_e32 v[10:11], v5
	v_ldexp_f64 v[10:11], v[10:11], 32
	v_cvt_f64_u32_e32 v[18:19], v17
	v_add_f64 v[10:11], v[10:11], v[18:19]
	v_cmp_gt_f64_e32 vcc, s[10:11], v[10:11]
	v_cndmask_b32_e64 v5, 0, 1, vcc
	v_lshlrev_b32_e32 v5, 8, v5
	v_ldexp_f64 v[10:11], v[10:11], v5
	v_rsq_f64_e32 v[18:19], v[10:11]
	v_cndmask_b32_e32 v5, 0, v16, vcc
	v_cmp_class_f64_e32 vcc, v[10:11], v15
	v_mul_f64 v[20:21], v[10:11], v[18:19]
	v_mul_f64 v[18:19], v[18:19], 0.5
	v_fma_f64 v[22:23], -v[18:19], v[20:21], 0.5
	v_fmac_f64_e32 v[20:21], v[20:21], v[22:23]
	v_fma_f64 v[24:25], -v[20:21], v[20:21], v[10:11]
	v_fmac_f64_e32 v[18:19], v[18:19], v[22:23]
	v_fmac_f64_e32 v[20:21], v[24:25], v[18:19]
	v_fma_f64 v[22:23], -v[20:21], v[20:21], v[10:11]
	v_fmac_f64_e32 v[20:21], v[22:23], v[18:19]
	v_ldexp_f64 v[18:19], v[20:21], v5
	v_cndmask_b32_e32 v11, v19, v11, vcc
	v_cndmask_b32_e32 v10, v18, v10, vcc
	v_fma_f64 v[10:11], v[10:11], 0.5, -0.5
	v_floor_f64_e32 v[10:11], v[10:11]
	v_add_f64 v[10:11], v[2:3], -v[10:11]
	v_trunc_f64_e32 v[10:11], v[10:11]
	v_ldexp_f64 v[18:19], v[10:11], s27
	v_floor_f64_e32 v[18:19], v[18:19]
	v_fmac_f64_e32 v[10:11], 0xc1f00000, v[18:19]
	v_cvt_u32_f64_e32 v10, v[10:11]
	v_cvt_u32_f64_e32 v11, v[18:19]
	v_mov_b32_e32 v5, s5
	v_subrev_co_u32_e32 v18, vcc, s4, v8
	v_subb_co_u32_e32 v19, vcc, v9, v5, vcc
	v_mov_b32_e32 v5, s22
	v_sub_co_u32_e32 v17, vcc, s23, v10
	v_subb_co_u32_e32 v5, vcc, v5, v11, vcc
	v_add_co_u32_e32 v20, vcc, -1, v17
	v_addc_co_u32_e32 v21, vcc, -1, v5, vcc
	v_mul_lo_u32 v22, v21, v17
	v_mul_lo_u32 v5, v20, v5
	v_mad_u64_u32 v[20:21], s[12:13], v20, v17, 0
	v_add3_u32 v21, v21, v5, v22
	v_mul_lo_u32 v5, v7, s8
	v_mul_lo_u32 v17, v6, s9
	v_mad_u64_u32 v[22:23], s[12:13], v6, s8, 0
	v_add3_u32 v23, v23, v17, v5
	v_mul_lo_u32 v5, v10, s19
	v_mad_u64_u32 v[24:25], s[12:13], v10, s18, 0
	v_mul_lo_u32 v17, v11, s18
	v_lshlrev_b64 v[22:23], 3, v[22:23]
	v_add3_u32 v25, v25, v5, v17
	v_mov_b32_e32 v5, s15
	v_add_co_u32_e32 v17, vcc, s14, v22
	v_addc_co_u32_e32 v5, vcc, v5, v23, vcc
	v_lshlrev_b64 v[22:23], 3, v[24:25]
	v_add_co_u32_e32 v17, vcc, v17, v22
	v_addc_co_u32_e32 v5, vcc, v5, v23, vcc
	v_lshlrev_b64 v[18:19], 3, v[18:19]
	;; [unrolled: 3-line block ×4, first 2 shown]
	v_and_b32_e32 v10, -8, v10
	v_add_co_u32_e32 v10, vcc, v17, v10
	v_addc_co_u32_e32 v5, vcc, v5, v11, vcc
	v_add_co_u32_e32 v10, vcc, 8, v10
	v_addc_co_u32_e32 v11, vcc, 0, v5, vcc
	s_mov_b64 s[12:13], -1
	s_branch .LBB8_11
.LBB8_10:                               ;   in Loop: Header=BB8_3 Depth=1
	s_mov_b64 s[0:1], -1
	s_mov_b64 s[12:13], 0
                                        ; implicit-def: $vgpr10_vgpr11
.LBB8_11:                               ;   in Loop: Header=BB8_3 Depth=1
	s_and_b64 vcc, exec, s[0:1]
	s_cbranch_vccz .LBB8_14
; %bb.12:                               ;   in Loop: Header=BB8_3 Depth=1
	s_cmpk_eq_i32 s20, 0x79
                                        ; implicit-def: $vgpr10_vgpr11
	s_cbranch_scc0 .LBB8_14
; %bb.13:                               ;   in Loop: Header=BB8_3 Depth=1
	v_lshlrev_b64 v[10:11], 3, v[8:9]
	v_or_b32_e32 v5, 1, v10
	v_cvt_f64_u32_e32 v[10:11], v11
	v_ldexp_f64 v[10:11], v[10:11], 32
	v_cvt_f64_u32_e32 v[18:19], v5
	v_add_f64 v[10:11], v[10:11], v[18:19]
	v_cmp_gt_f64_e32 vcc, s[10:11], v[10:11]
	v_cndmask_b32_e64 v5, 0, 1, vcc
	v_lshlrev_b32_e32 v5, 8, v5
	v_ldexp_f64 v[10:11], v[10:11], v5
	v_rsq_f64_e32 v[18:19], v[10:11]
	v_cndmask_b32_e32 v5, 0, v16, vcc
	v_cmp_class_f64_e32 vcc, v[10:11], v15
	v_mul_lo_u32 v17, v6, s9
	v_mul_f64 v[20:21], v[10:11], v[18:19]
	v_mul_f64 v[18:19], v[18:19], 0.5
	v_fma_f64 v[22:23], -v[18:19], v[20:21], 0.5
	v_fmac_f64_e32 v[20:21], v[20:21], v[22:23]
	v_fma_f64 v[24:25], -v[20:21], v[20:21], v[10:11]
	v_fmac_f64_e32 v[18:19], v[18:19], v[22:23]
	v_fmac_f64_e32 v[20:21], v[24:25], v[18:19]
	v_fma_f64 v[22:23], -v[20:21], v[20:21], v[10:11]
	v_fmac_f64_e32 v[20:21], v[22:23], v[18:19]
	v_ldexp_f64 v[18:19], v[20:21], v5
	v_cndmask_b32_e32 v11, v19, v11, vcc
	v_cndmask_b32_e32 v10, v18, v10, vcc
	v_add_f64 v[10:11], v[10:11], -1.0
	v_mul_f64 v[10:11], v[10:11], 0.5
	v_trunc_f64_e32 v[10:11], v[10:11]
	v_ldexp_f64 v[18:19], v[10:11], s27
	v_floor_f64_e32 v[18:19], v[18:19]
	v_fmac_f64_e32 v[10:11], 0xc1f00000, v[18:19]
	v_cvt_u32_f64_e32 v10, v[10:11]
	v_cvt_u32_f64_e32 v11, v[18:19]
	v_mad_u64_u32 v[18:19], s[0:1], v10, v10, v[10:11]
	v_mul_lo_u32 v5, v10, v11
	v_add3_u32 v19, v5, v19, v5
	v_lshrrev_b64 v[18:19], 1, v[18:19]
	v_sub_co_u32_e32 v8, vcc, v8, v18
	v_mul_lo_u32 v5, v7, s8
	v_mad_u64_u32 v[6:7], s[0:1], v6, s8, 0
	v_subb_co_u32_e32 v9, vcc, v9, v19, vcc
	v_add3_u32 v7, v7, v17, v5
	v_pk_mov_b32 v[18:19], s[18:19], s[18:19] op_sel:[0,1]
	v_mul_lo_u32 v5, s19, v10
	v_mad_u64_u32 v[18:19], s[0:1], s18, v10, v[18:19]
	v_mul_lo_u32 v10, s18, v11
	v_lshlrev_b64 v[6:7], 3, v[6:7]
	v_add3_u32 v19, v5, v19, v10
	v_mov_b32_e32 v5, s15
	v_add_co_u32_e32 v10, vcc, s14, v6
	v_addc_co_u32_e32 v5, vcc, v5, v7, vcc
	v_lshlrev_b64 v[6:7], 3, v[18:19]
	v_add_co_u32_e32 v10, vcc, v10, v6
	v_addc_co_u32_e32 v5, vcc, v5, v7, vcc
	v_lshlrev_b64 v[6:7], 3, v[8:9]
	v_add_co_u32_e32 v10, vcc, v10, v6
	v_addc_co_u32_e32 v11, vcc, v5, v7, vcc
	s_mov_b64 s[12:13], -1
.LBB8_14:                               ;   in Loop: Header=BB8_3 Depth=1
	s_and_b64 vcc, exec, s[12:13]
	s_cbranch_vccz .LBB8_2
; %bb.15:                               ;   in Loop: Header=BB8_3 Depth=1
	v_mov_b32_e32 v5, v4
	global_store_dwordx2 v[10:11], v[4:5], off
	s_branch .LBB8_2
.LBB8_16:
	s_endpgm
	.section	.rodata,"a",@progbits
	.p2align	6, 0x0
	.amdhsa_kernel _ZL18rocblas_trtri_fillILi128E19rocblas_complex_numIfEPS1_EvP15_rocblas_handle13rocblas_fill_ililT1_llii
		.amdhsa_group_segment_fixed_size 0
		.amdhsa_private_segment_fixed_size 0
		.amdhsa_kernarg_size 328
		.amdhsa_user_sgpr_count 6
		.amdhsa_user_sgpr_private_segment_buffer 1
		.amdhsa_user_sgpr_dispatch_ptr 0
		.amdhsa_user_sgpr_queue_ptr 0
		.amdhsa_user_sgpr_kernarg_segment_ptr 1
		.amdhsa_user_sgpr_dispatch_id 0
		.amdhsa_user_sgpr_flat_scratch_init 0
		.amdhsa_user_sgpr_kernarg_preload_length 0
		.amdhsa_user_sgpr_kernarg_preload_offset 0
		.amdhsa_user_sgpr_private_segment_size 0
		.amdhsa_uses_dynamic_stack 0
		.amdhsa_system_sgpr_private_segment_wavefront_offset 0
		.amdhsa_system_sgpr_workgroup_id_x 1
		.amdhsa_system_sgpr_workgroup_id_y 0
		.amdhsa_system_sgpr_workgroup_id_z 1
		.amdhsa_system_sgpr_workgroup_info 0
		.amdhsa_system_vgpr_workitem_id 0
		.amdhsa_next_free_vgpr 26
		.amdhsa_next_free_sgpr 28
		.amdhsa_accum_offset 28
		.amdhsa_reserve_vcc 1
		.amdhsa_reserve_flat_scratch 0
		.amdhsa_float_round_mode_32 0
		.amdhsa_float_round_mode_16_64 0
		.amdhsa_float_denorm_mode_32 3
		.amdhsa_float_denorm_mode_16_64 3
		.amdhsa_dx10_clamp 1
		.amdhsa_ieee_mode 1
		.amdhsa_fp16_overflow 0
		.amdhsa_tg_split 0
		.amdhsa_exception_fp_ieee_invalid_op 0
		.amdhsa_exception_fp_denorm_src 0
		.amdhsa_exception_fp_ieee_div_zero 0
		.amdhsa_exception_fp_ieee_overflow 0
		.amdhsa_exception_fp_ieee_underflow 0
		.amdhsa_exception_fp_ieee_inexact 0
		.amdhsa_exception_int_div_zero 0
	.end_amdhsa_kernel
	.section	.text._ZL18rocblas_trtri_fillILi128E19rocblas_complex_numIfEPS1_EvP15_rocblas_handle13rocblas_fill_ililT1_llii,"axG",@progbits,_ZL18rocblas_trtri_fillILi128E19rocblas_complex_numIfEPS1_EvP15_rocblas_handle13rocblas_fill_ililT1_llii,comdat
.Lfunc_end8:
	.size	_ZL18rocblas_trtri_fillILi128E19rocblas_complex_numIfEPS1_EvP15_rocblas_handle13rocblas_fill_ililT1_llii, .Lfunc_end8-_ZL18rocblas_trtri_fillILi128E19rocblas_complex_numIfEPS1_EvP15_rocblas_handle13rocblas_fill_ililT1_llii
                                        ; -- End function
	.section	.AMDGPU.csdata,"",@progbits
; Kernel info:
; codeLenInByte = 1952
; NumSgprs: 32
; NumVgprs: 26
; NumAgprs: 0
; TotalNumVgprs: 26
; ScratchSize: 0
; MemoryBound: 0
; FloatMode: 240
; IeeeMode: 1
; LDSByteSize: 0 bytes/workgroup (compile time only)
; SGPRBlocks: 3
; VGPRBlocks: 3
; NumSGPRsForWavesPerEU: 32
; NumVGPRsForWavesPerEU: 26
; AccumOffset: 28
; Occupancy: 8
; WaveLimiterHint : 0
; COMPUTE_PGM_RSRC2:SCRATCH_EN: 0
; COMPUTE_PGM_RSRC2:USER_SGPR: 6
; COMPUTE_PGM_RSRC2:TRAP_HANDLER: 0
; COMPUTE_PGM_RSRC2:TGID_X_EN: 1
; COMPUTE_PGM_RSRC2:TGID_Y_EN: 0
; COMPUTE_PGM_RSRC2:TGID_Z_EN: 1
; COMPUTE_PGM_RSRC2:TIDIG_COMP_CNT: 0
; COMPUTE_PGM_RSRC3_GFX90A:ACCUM_OFFSET: 6
; COMPUTE_PGM_RSRC3_GFX90A:TG_SPLIT: 0
	.section	.text._ZL26rocblas_trtri_small_kernelILi16E19rocblas_complex_numIfEPKS1_PS1_Ev13rocblas_fill_17rocblas_diagonal_iT1_lillT2_lilli,"axG",@progbits,_ZL26rocblas_trtri_small_kernelILi16E19rocblas_complex_numIfEPKS1_PS1_Ev13rocblas_fill_17rocblas_diagonal_iT1_lillT2_lilli,comdat
	.globl	_ZL26rocblas_trtri_small_kernelILi16E19rocblas_complex_numIfEPKS1_PS1_Ev13rocblas_fill_17rocblas_diagonal_iT1_lillT2_lilli ; -- Begin function _ZL26rocblas_trtri_small_kernelILi16E19rocblas_complex_numIfEPKS1_PS1_Ev13rocblas_fill_17rocblas_diagonal_iT1_lillT2_lilli
	.p2align	8
	.type	_ZL26rocblas_trtri_small_kernelILi16E19rocblas_complex_numIfEPKS1_PS1_Ev13rocblas_fill_17rocblas_diagonal_iT1_lillT2_lilli,@function
_ZL26rocblas_trtri_small_kernelILi16E19rocblas_complex_numIfEPKS1_PS1_Ev13rocblas_fill_17rocblas_diagonal_iT1_lillT2_lilli: ; @_ZL26rocblas_trtri_small_kernelILi16E19rocblas_complex_numIfEPKS1_PS1_Ev13rocblas_fill_17rocblas_diagonal_iT1_lillT2_lilli
; %bb.0:
	s_load_dwordx4 s[16:19], s[4:5], 0x0
	s_waitcnt lgkmcnt(0)
	s_cmp_lt_i32 s18, 1
	s_cbranch_scc1 .LBB9_53
; %bb.1:
	s_load_dwordx8 s[8:15], s[4:5], 0x28
	v_cmp_le_u32_e64 s[2:3], s18, v0
	v_cmp_gt_u32_e64 s[0:1], s18, v0
	s_and_saveexec_b64 s[24:25], s[0:1]
	s_cbranch_execz .LBB9_14
; %bb.2:
	s_load_dwordx4 s[20:23], s[4:5], 0x10
	s_load_dword s26, s[4:5], 0x20
	s_waitcnt lgkmcnt(0)
	s_mul_i32 s9, s7, s9
	s_mul_hi_u32 s19, s7, s8
	s_add_i32 s9, s19, s9
	s_mul_i32 s11, s6, s11
	s_mul_hi_u32 s19, s6, s10
	s_add_i32 s11, s19, s11
	s_mul_i32 s8, s7, s8
	s_mul_i32 s10, s6, s10
	s_cmpk_lg_i32 s16, 0x7a
	s_mov_b64 s[28:29], -1
	s_cbranch_scc0 .LBB9_6
; %bb.3:
	s_ashr_i32 s27, s26, 31
	s_lshl_b32 s19, s18, 3
	s_ashr_i32 s28, s18, 31
	s_add_u32 s30, s18, -1
	s_addc_u32 s28, s28, -1
	s_mul_i32 s29, s30, s27
	s_mul_hi_u32 s31, s30, s26
	s_add_i32 s29, s31, s29
	s_mul_i32 s28, s28, s26
	s_add_i32 s29, s29, s28
	s_mul_i32 s28, s30, s26
	s_lshl_b64 s[28:29], s[28:29], 3
	s_lshl_b64 s[30:31], s[10:11], 3
	s_add_u32 s30, s28, s30
	s_addc_u32 s31, s29, s31
	s_lshl_b64 s[28:29], s[8:9], 3
	s_add_u32 s30, s30, s28
	s_addc_u32 s31, s31, s29
	s_lshl_b64 s[28:29], s[22:23], 3
	s_add_u32 s28, s30, s28
	s_addc_u32 s29, s31, s29
	s_add_u32 s28, s20, s28
	s_addc_u32 s29, s21, s29
	s_lshl_b64 s[30:31], s[26:27], 3
	v_lshlrev_b32_e32 v2, 3, v0
	s_sub_u32 s27, 0, s30
	v_sub_u32_e32 v1, s19, v2
	v_mov_b32_e32 v3, s29
	v_add_co_u32_e32 v2, vcc, s28, v2
	s_subb_u32 s30, 0, s31
	v_add_u32_e32 v1, -8, v1
	v_addc_co_u32_e32 v3, vcc, 0, v3, vcc
	s_mov_b64 s[28:29], 0
	v_mov_b32_e32 v4, s30
	s_mov_b32 s30, s18
.LBB9_4:                                ; =>This Inner Loop Header: Depth=1
	global_load_dwordx2 v[6:7], v[2:3], off
	v_add_co_u32_e32 v2, vcc, s27, v2
	s_add_i32 s30, s30, -1
	v_addc_co_u32_e32 v3, vcc, v3, v4, vcc
	v_cmp_le_i32_e32 vcc, s30, v0
	s_or_b64 s[28:29], vcc, s[28:29]
	s_waitcnt vmcnt(0)
	ds_write_b64 v1, v[6:7]
	v_add_u32_e32 v1, s19, v1
	s_andn2_b64 exec, exec, s[28:29]
	s_cbranch_execnz .LBB9_4
; %bb.5:
	s_or_b64 exec, exec, s[28:29]
	s_mov_b64 s[28:29], 0
.LBB9_6:
	s_and_b64 vcc, exec, s[28:29]
	s_cbranch_vccz .LBB9_14
; %bb.7:
	v_mov_b32_e32 v1, 0
	s_ashr_i32 s27, s26, 31
	v_add_u32_e32 v4, 1, v0
	v_cmp_lt_u32_e32 vcc, 2, v0
	s_and_saveexec_b64 s[28:29], vcc
	s_cbranch_execz .LBB9_11
; %bb.8:
	s_lshl_b64 s[30:31], s[8:9], 3
	s_add_u32 s19, s20, s30
	s_addc_u32 s33, s21, s31
	s_lshl_b64 s[30:31], s[22:23], 3
	s_add_u32 s19, s19, s30
	s_addc_u32 s33, s33, s31
	;; [unrolled: 3-line block ×3, first 2 shown]
	v_lshlrev_b32_e32 v5, 3, v0
	v_mov_b32_e32 v1, s30
	v_add_co_u32_e32 v2, vcc, s19, v5
	s_mul_hi_i32 s44, s26, 24
	s_lshl_b64 s[30:31], s[26:27], 5
	s_lshl_b64 s[34:35], s[26:27], 4
	;; [unrolled: 1-line block ×3, first 2 shown]
	v_addc_co_u32_e32 v3, vcc, 0, v1, vcc
	v_and_b32_e32 v1, 28, v4
	s_mul_i32 s19, s26, 24
	s_lshl_b32 s33, s18, 3
	s_lshl_b32 s40, s18, 5
	;; [unrolled: 1-line block ×3, first 2 shown]
	s_mul_i32 s42, s18, 24
	s_mov_b32 s43, 0
	s_mov_b64 s[38:39], 0
	v_mov_b32_e32 v6, s37
	v_mov_b32_e32 v7, s35
	;; [unrolled: 1-line block ×4, first 2 shown]
.LBB9_9:                                ; =>This Inner Loop Header: Depth=1
	v_add_co_u32_e32 v12, vcc, s36, v2
	v_addc_co_u32_e32 v13, vcc, v3, v6, vcc
	v_add_co_u32_e32 v14, vcc, s34, v2
	v_addc_co_u32_e32 v15, vcc, v3, v7, vcc
	global_load_dwordx2 v[10:11], v[2:3], off
	v_add_co_u32_e32 v16, vcc, s19, v2
	v_addc_co_u32_e32 v17, vcc, v3, v8, vcc
	global_load_dwordx2 v[18:19], v[12:13], off
	global_load_dwordx2 v[20:21], v[14:15], off
	;; [unrolled: 1-line block ×3, first 2 shown]
	v_add_co_u32_e32 v2, vcc, s30, v2
	s_add_i32 s43, s43, 4
	v_addc_co_u32_e32 v3, vcc, v3, v9, vcc
	v_cmp_eq_u32_e32 vcc, s43, v1
	v_add_u32_e32 v12, s33, v5
	v_add_u32_e32 v13, s41, v5
	;; [unrolled: 1-line block ×3, first 2 shown]
	s_or_b64 s[38:39], vcc, s[38:39]
	s_waitcnt vmcnt(3)
	ds_write_b64 v5, v[10:11]
	v_add_u32_e32 v5, s40, v5
	s_waitcnt vmcnt(2)
	ds_write_b64 v12, v[18:19]
	s_waitcnt vmcnt(1)
	ds_write_b64 v13, v[20:21]
	;; [unrolled: 2-line block ×3, first 2 shown]
	s_andn2_b64 exec, exec, s[38:39]
	s_cbranch_execnz .LBB9_9
; %bb.10:
	s_or_b64 exec, exec, s[38:39]
.LBB9_11:
	s_or_b64 exec, exec, s[28:29]
	v_and_b32_e32 v4, 3, v4
	v_cmp_ne_u32_e32 vcc, 0, v4
	s_and_b64 exec, exec, vcc
	s_cbranch_execz .LBB9_14
; %bb.12:
	s_lshl_b32 s19, s18, 3
	s_lshl_b64 s[10:11], s[10:11], 3
	s_lshl_b64 s[8:9], s[8:9], 3
	v_mul_lo_u32 v2, v1, s18
	s_add_u32 s10, s10, s8
	v_add_lshl_u32 v5, v0, v2, 3
	s_addc_u32 s11, s11, s9
	v_mad_i64_i32 v[2:3], s[8:9], s26, v1, 0
	s_lshl_b64 s[8:9], s[22:23], 3
	s_add_u32 s8, s8, s10
	v_lshlrev_b64 v[2:3], 3, v[2:3]
	s_addc_u32 s9, s9, s11
	v_mov_b32_e32 v1, s9
	v_add_co_u32_e32 v2, vcc, s8, v2
	v_addc_co_u32_e32 v1, vcc, v1, v3, vcc
	v_lshlrev_b32_e32 v3, 3, v0
	v_add_co_u32_e32 v2, vcc, v2, v3
	v_addc_co_u32_e32 v1, vcc, 0, v1, vcc
	v_mov_b32_e32 v3, s21
	v_add_co_u32_e32 v2, vcc, s20, v2
	s_lshl_b64 s[8:9], s[26:27], 3
	v_addc_co_u32_e32 v3, vcc, v3, v1, vcc
	s_mov_b64 s[10:11], 0
	v_mov_b32_e32 v1, s9
.LBB9_13:                               ; =>This Inner Loop Header: Depth=1
	global_load_dwordx2 v[6:7], v[2:3], off
	v_add_co_u32_e32 v2, vcc, s8, v2
	v_addc_co_u32_e32 v3, vcc, v3, v1, vcc
	v_add_u32_e32 v4, -1, v4
	v_cmp_eq_u32_e32 vcc, 0, v4
	s_or_b64 s[10:11], vcc, s[10:11]
	s_waitcnt vmcnt(0)
	ds_write_b64 v5, v[6:7]
	v_add_u32_e32 v5, s19, v5
	s_andn2_b64 exec, exec, s[10:11]
	s_cbranch_execnz .LBB9_13
.LBB9_14:
	s_or_b64 exec, exec, s[24:25]
	s_waitcnt lgkmcnt(0)
	; wave barrier
	s_waitcnt lgkmcnt(0)
                                        ; implicit-def: $vgpr2
	s_waitcnt lgkmcnt(0)
	s_and_saveexec_b64 s[8:9], s[2:3]
	s_xor_b64 s[2:3], exec, s[8:9]
; %bb.15:
	v_mad_u64_u32 v[2:3], s[8:9], v0, s18, v[0:1]
; %bb.16:
	s_andn2_saveexec_b64 s[8:9], s[2:3]
	s_cbranch_execz .LBB9_29
; %bb.17:
	v_mad_u64_u32 v[2:3], s[2:3], v0, s18, v[0:1]
	s_cmpk_lg_i32 s17, 0x84
	v_lshlrev_b32_e32 v1, 3, v2
	s_cbranch_scc0 .LBB9_27
; %bb.18:
	ds_read_b64 v[4:5], v1
	s_waitcnt lgkmcnt(0)
	v_cmp_neq_f32_e32 vcc, 0, v4
	v_cmp_neq_f32_e64 s[2:3], 0, v5
	s_or_b64 s[2:3], vcc, s[2:3]
	s_and_saveexec_b64 s[10:11], s[2:3]
	s_xor_b64 s[2:3], exec, s[10:11]
	s_cbranch_execz .LBB9_24
; %bb.19:
	v_cmp_gt_f32_e32 vcc, 0, v5
	v_cndmask_b32_e64 v3, v5, -v5, vcc
	v_cmp_gt_f32_e32 vcc, 0, v4
	v_cndmask_b32_e64 v6, v4, -v4, vcc
	v_cmp_ngt_f32_e32 vcc, v6, v3
                                        ; implicit-def: $vgpr6_vgpr7
	s_and_saveexec_b64 s[10:11], vcc
	s_xor_b64 s[10:11], exec, s[10:11]
	s_cbranch_execz .LBB9_21
; %bb.20:
	v_div_scale_f32 v3, s[20:21], v5, v5, v4
	v_rcp_f32_e32 v6, v3
	v_div_scale_f32 v7, vcc, v4, v5, v4
	v_fma_f32 v8, -v3, v6, 1.0
	v_fmac_f32_e32 v6, v8, v6
	v_mul_f32_e32 v8, v7, v6
	v_fma_f32 v9, -v3, v8, v7
	v_fmac_f32_e32 v8, v9, v6
	v_fma_f32 v3, -v3, v8, v7
	v_div_fmas_f32 v3, v3, v6, v8
	v_div_fixup_f32 v3, v3, v5, v4
	v_fmac_f32_e32 v5, v4, v3
	v_div_scale_f32 v4, s[20:21], v5, v5, 1.0
	v_rcp_f32_e32 v6, v4
	v_fma_f32 v7, -v4, v6, 1.0
	v_fmac_f32_e32 v6, v7, v6
	v_div_scale_f32 v7, vcc, 1.0, v5, 1.0
	v_mul_f32_e32 v8, v7, v6
	v_fma_f32 v9, -v4, v8, v7
	v_fmac_f32_e32 v8, v9, v6
	v_fma_f32 v4, -v4, v8, v7
	v_div_fmas_f32 v4, v4, v6, v8
	v_div_fixup_f32 v4, v4, v5, 1.0
	v_mul_f32_e32 v6, v3, v4
	v_xor_b32_e32 v7, 0x80000000, v4
                                        ; implicit-def: $vgpr4_vgpr5
.LBB9_21:
	s_andn2_saveexec_b64 s[10:11], s[10:11]
	s_cbranch_execz .LBB9_23
; %bb.22:
	v_div_scale_f32 v3, s[20:21], v4, v4, v5
	v_rcp_f32_e32 v6, v3
	v_div_scale_f32 v7, vcc, v5, v4, v5
	v_fma_f32 v8, -v3, v6, 1.0
	v_fmac_f32_e32 v6, v8, v6
	v_mul_f32_e32 v8, v7, v6
	v_fma_f32 v9, -v3, v8, v7
	v_fmac_f32_e32 v8, v9, v6
	v_fma_f32 v3, -v3, v8, v7
	v_div_fmas_f32 v3, v3, v6, v8
	v_div_fixup_f32 v3, v3, v4, v5
	v_fmac_f32_e32 v4, v5, v3
	v_div_scale_f32 v5, s[20:21], v4, v4, 1.0
	v_rcp_f32_e32 v6, v5
	v_fma_f32 v7, -v5, v6, 1.0
	v_fmac_f32_e32 v6, v7, v6
	v_div_scale_f32 v7, vcc, 1.0, v4, 1.0
	v_mul_f32_e32 v8, v7, v6
	v_fma_f32 v9, -v5, v8, v7
	v_fmac_f32_e32 v8, v9, v6
	v_fma_f32 v5, -v5, v8, v7
	v_div_fmas_f32 v5, v5, v6, v8
	v_div_fixup_f32 v6, v5, v4, 1.0
	v_mul_f32_e64 v7, v3, -v6
.LBB9_23:
	s_or_b64 exec, exec, s[10:11]
	ds_write_b64 v1, v[6:7]
.LBB9_24:
	s_andn2_saveexec_b64 s[2:3], s[2:3]
	s_cbranch_execz .LBB9_26
; %bb.25:
	v_mov_b32_e32 v4, 1.0
	v_mov_b32_e32 v5, 0
	ds_write_b64 v1, v[4:5]
.LBB9_26:
	s_or_b64 exec, exec, s[2:3]
	s_cbranch_execz .LBB9_28
	s_branch .LBB9_29
.LBB9_27:
.LBB9_28:
	v_mov_b32_e32 v4, 1.0
	v_mov_b32_e32 v5, 0
	ds_write_b64 v1, v[4:5]
.LBB9_29:
	s_or_b64 exec, exec, s[8:9]
	s_lshl_b32 s19, s18, 3
	v_lshlrev_b32_e32 v1, 3, v2
	s_mov_b32 s8, 8
	s_add_i32 s9, s19, 8
	v_add_lshl_u32 v2, v0, s18, 3
	s_mov_b32 s10, 0
	s_waitcnt lgkmcnt(0)
	; wave barrier
	s_waitcnt lgkmcnt(0)
	s_branch .LBB9_31
.LBB9_30:                               ;   in Loop: Header=BB9_31 Depth=1
	s_add_i32 s8, s8, s9
	s_cmp_eq_u32 s10, s18
	v_add_u32_e32 v2, s19, v2
	s_waitcnt lgkmcnt(0)
	; wave barrier
	s_cbranch_scc1 .LBB9_40
.LBB9_31:                               ; =>This Loop Header: Depth=1
                                        ;     Child Loop BB9_36 Depth 2
	s_mul_i32 s11, s10, s18
	v_cmp_lt_u32_e32 vcc, s10, v0
	v_mov_b32_e32 v4, 0
	v_add_lshl_u32 v3, s11, v0, 3
	v_mov_b32_e32 v5, 0
	s_and_saveexec_b64 s[2:3], vcc
	s_cbranch_execz .LBB9_33
; %bb.32:                               ;   in Loop: Header=BB9_31 Depth=1
	s_add_i32 s11, s11, s10
	s_lshl_b32 s11, s11, 3
	v_mov_b32_e32 v6, s11
	ds_read_b64 v[4:5], v3
	ds_read_b64 v[6:7], v6
	s_waitcnt lgkmcnt(0)
	v_mul_f32_e32 v8, v7, v5
	v_mul_f32_e32 v5, v6, v5
	v_fma_f32 v6, v6, v4, -v8
	v_fmac_f32_e32 v5, v7, v4
	v_add_f32_e32 v4, 0, v6
	v_add_f32_e32 v5, 0, v5
.LBB9_33:                               ;   in Loop: Header=BB9_31 Depth=1
	s_or_b64 exec, exec, s[2:3]
	s_add_i32 s10, s10, 1
	s_cmp_ge_i32 s10, s18
	s_waitcnt lgkmcnt(0)
	; wave barrier
	s_cbranch_scc1 .LBB9_30
; %bb.34:                               ;   in Loop: Header=BB9_31 Depth=1
	v_mov_b32_e32 v6, v2
	s_mov_b32 s11, s8
	s_mov_b32 s17, s10
	s_branch .LBB9_36
.LBB9_35:                               ;   in Loop: Header=BB9_36 Depth=2
	s_or_b64 exec, exec, s[2:3]
	s_add_i32 s17, s17, 1
	s_add_i32 s11, s11, 8
	s_cmp_ge_i32 s17, s18
	v_add_u32_e32 v6, s19, v6
	s_waitcnt lgkmcnt(0)
	; wave barrier
	s_cbranch_scc1 .LBB9_30
.LBB9_36:                               ;   Parent Loop BB9_31 Depth=1
                                        ; =>  This Inner Loop Header: Depth=2
	v_cmp_eq_u32_e32 vcc, s17, v0
	s_and_saveexec_b64 s[2:3], vcc
	s_cbranch_execz .LBB9_38
; %bb.37:                               ;   in Loop: Header=BB9_36 Depth=2
	ds_read_b64 v[8:9], v1
	v_sub_f32_e32 v7, 0, v4
	s_waitcnt lgkmcnt(0)
	v_mul_f32_e32 v10, v5, v9
	v_mul_f32_e32 v11, v5, v8
	v_fmac_f32_e32 v10, v7, v8
	v_fma_f32 v11, -v4, v9, -v11
	ds_write_b64 v3, v[10:11]
.LBB9_38:                               ;   in Loop: Header=BB9_36 Depth=2
	s_or_b64 exec, exec, s[2:3]
	v_cmp_lt_u32_e32 vcc, s17, v0
	s_waitcnt lgkmcnt(0)
	; wave barrier
	s_waitcnt lgkmcnt(0)
	s_and_saveexec_b64 s[2:3], vcc
	s_cbranch_execz .LBB9_35
; %bb.39:                               ;   in Loop: Header=BB9_36 Depth=2
	v_mov_b32_e32 v7, s11
	ds_read_b64 v[8:9], v6
	ds_read_b64 v[10:11], v7
	s_waitcnt lgkmcnt(0)
	v_mul_f32_e32 v7, v11, v9
	v_mul_f32_e32 v9, v10, v9
	v_fma_f32 v7, v10, v8, -v7
	v_fmac_f32_e32 v9, v11, v8
	v_add_f32_e32 v4, v4, v7
	v_add_f32_e32 v5, v5, v9
	s_branch .LBB9_35
.LBB9_40:
	s_and_saveexec_b64 s[2:3], s[0:1]
	s_cbranch_execz .LBB9_53
; %bb.41:
	s_load_dwordx4 s[8:11], s[4:5], 0x50
	s_load_dword s0, s[4:5], 0x48
	v_lshlrev_b32_e32 v1, 3, v0
	s_waitcnt lgkmcnt(0)
	s_mul_i32 s1, s7, s9
	s_mul_hi_u32 s3, s7, s8
	s_mul_i32 s4, s6, s11
	s_add_i32 s3, s3, s1
	s_mul_hi_u32 s1, s6, s10
	s_add_i32 s5, s1, s4
	s_mul_i32 s2, s7, s8
	s_mul_i32 s4, s6, s10
	s_mov_b64 s[6:7], -1
	s_cmpk_lg_i32 s16, 0x7a
	s_cbranch_scc0 .LBB9_45
; %bb.42:
	s_add_i32 s10, s18, -1
	s_ashr_i32 s1, s0, 31
	s_lshl_b64 s[6:7], s[4:5], 3
	s_lshl_b64 s[8:9], s[2:3], 3
	s_add_u32 s8, s6, s8
	s_addc_u32 s9, s7, s9
	s_mul_i32 s6, s1, s10
	s_mul_hi_u32 s7, s0, s10
	s_add_i32 s7, s7, s6
	s_mul_i32 s6, s0, s10
	s_lshl_b64 s[6:7], s[6:7], 3
	s_add_u32 s8, s8, s6
	s_addc_u32 s9, s9, s7
	s_lshl_b64 s[6:7], s[14:15], 3
	s_add_u32 s6, s8, s6
	s_addc_u32 s7, s9, s7
	s_add_u32 s6, s12, s6
	s_addc_u32 s7, s13, s7
	s_lshl_b64 s[8:9], s[0:1], 3
	v_lshlrev_b32_e32 v4, 3, v0
	s_sub_u32 s1, 0, s8
	v_mov_b32_e32 v3, s7
	v_add_co_u32_e32 v2, vcc, s6, v4
	s_subb_u32 s8, 0, s9
	v_sub_u32_e32 v4, s19, v4
	v_addc_co_u32_e32 v3, vcc, 0, v3, vcc
	s_mov_b64 s[6:7], 0
	v_add_u32_e32 v4, -8, v4
	v_mov_b32_e32 v5, s8
	s_mov_b32 s8, s18
.LBB9_43:                               ; =>This Inner Loop Header: Depth=1
	ds_read_b64 v[6:7], v4
	s_add_i32 s8, s8, -1
	v_cmp_le_i32_e32 vcc, s8, v0
	s_or_b64 s[6:7], vcc, s[6:7]
	v_add_u32_e32 v4, s19, v4
	s_waitcnt lgkmcnt(0)
	global_store_dwordx2 v[2:3], v[6:7], off
	v_add_co_u32_e32 v2, vcc, s1, v2
	v_addc_co_u32_e32 v3, vcc, v3, v5, vcc
	s_andn2_b64 exec, exec, s[6:7]
	s_cbranch_execnz .LBB9_43
; %bb.44:
	s_or_b64 exec, exec, s[6:7]
	s_mov_b64 s[6:7], 0
.LBB9_45:
	s_and_b64 vcc, exec, s[6:7]
	s_cbranch_vccz .LBB9_53
; %bb.46:
	v_mov_b32_e32 v4, 0
	s_ashr_i32 s1, s0, 31
	v_add_u32_e32 v5, 1, v0
	v_cmp_lt_u32_e32 vcc, 2, v0
	s_and_saveexec_b64 s[6:7], vcc
	s_cbranch_execz .LBB9_50
; %bb.47:
	s_lshl_b64 s[8:9], s[2:3], 3
	s_add_u32 s10, s12, s8
	s_addc_u32 s11, s13, s9
	s_lshl_b64 s[8:9], s[14:15], 3
	s_add_u32 s10, s10, s8
	s_addc_u32 s11, s11, s9
	;; [unrolled: 3-line block ×3, first 2 shown]
	v_mov_b32_e32 v3, s9
	v_add_co_u32_e32 v2, vcc, s8, v1
	s_mul_hi_i32 s27, s0, 24
	s_lshl_b64 s[8:9], s[0:1], 5
	s_lshl_b64 s[10:11], s[0:1], 4
	s_lshl_b64 s[16:17], s[0:1], 3
	v_addc_co_u32_e32 v3, vcc, 0, v3, vcc
	v_and_b32_e32 v4, 28, v5
	s_mul_i32 s22, s0, 24
	s_lshl_b32 s23, s18, 5
	s_lshl_b32 s24, s18, 4
	s_mul_i32 s25, s18, 24
	s_mov_b32 s26, 0
	s_mov_b64 s[20:21], 0
	v_mov_b32_e32 v6, s17
	v_mov_b32_e32 v7, s11
	;; [unrolled: 1-line block ×5, first 2 shown]
.LBB9_48:                               ; =>This Inner Loop Header: Depth=1
	v_add_co_u32_e32 v14, vcc, s16, v2
	v_addc_co_u32_e32 v15, vcc, v3, v6, vcc
	ds_read_b64 v[12:13], v10
	v_add_co_u32_e32 v16, vcc, s10, v2
	v_add_u32_e32 v11, s19, v10
	v_add_u32_e32 v22, s24, v10
	v_addc_co_u32_e32 v17, vcc, v3, v7, vcc
	v_add_u32_e32 v24, s25, v10
	v_add_co_u32_e32 v18, vcc, s22, v2
	ds_read_b64 v[20:21], v11
	ds_read_b64 v[22:23], v22
	;; [unrolled: 1-line block ×3, first 2 shown]
	v_addc_co_u32_e32 v19, vcc, v3, v8, vcc
	s_add_i32 s26, s26, 4
	v_cmp_eq_u32_e32 vcc, s26, v4
	s_or_b64 s[20:21], vcc, s[20:21]
	s_waitcnt lgkmcnt(3)
	global_store_dwordx2 v[2:3], v[12:13], off
	v_add_co_u32_e32 v2, vcc, s8, v2
	v_add_u32_e32 v10, s23, v10
	v_addc_co_u32_e32 v3, vcc, v3, v9, vcc
	s_waitcnt lgkmcnt(2)
	global_store_dwordx2 v[14:15], v[20:21], off
	s_waitcnt lgkmcnt(1)
	global_store_dwordx2 v[16:17], v[22:23], off
	;; [unrolled: 2-line block ×3, first 2 shown]
	s_andn2_b64 exec, exec, s[20:21]
	s_cbranch_execnz .LBB9_48
; %bb.49:
	s_or_b64 exec, exec, s[20:21]
.LBB9_50:
	s_or_b64 exec, exec, s[6:7]
	v_and_b32_e32 v5, 3, v5
	v_cmp_ne_u32_e32 vcc, 0, v5
	s_and_b64 exec, exec, vcc
	s_cbranch_execz .LBB9_53
; %bb.51:
	s_lshl_b64 s[4:5], s[4:5], 3
	s_lshl_b64 s[2:3], s[2:3], 3
	s_add_u32 s4, s4, s2
	s_addc_u32 s5, s5, s3
	v_mad_i64_i32 v[2:3], s[2:3], s0, v4, 0
	s_lshl_b64 s[2:3], s[14:15], 3
	s_add_u32 s2, s2, s4
	v_lshlrev_b64 v[2:3], 3, v[2:3]
	s_addc_u32 s3, s3, s5
	v_mov_b32_e32 v6, s3
	v_add_co_u32_e32 v2, vcc, s2, v2
	v_addc_co_u32_e32 v3, vcc, v6, v3, vcc
	v_add_co_u32_e32 v1, vcc, v2, v1
	v_addc_co_u32_e32 v3, vcc, 0, v3, vcc
	v_mov_b32_e32 v6, s13
	v_add_co_u32_e32 v2, vcc, s12, v1
	s_lshl_b64 s[0:1], s[0:1], 3
	v_mul_lo_u32 v1, v4, s18
	v_addc_co_u32_e32 v3, vcc, v6, v3, vcc
	v_add_lshl_u32 v0, v0, v1, 3
	s_mov_b64 s[2:3], 0
	v_mov_b32_e32 v1, s1
.LBB9_52:                               ; =>This Inner Loop Header: Depth=1
	ds_read_b64 v[6:7], v0
	v_add_u32_e32 v5, -1, v5
	v_cmp_eq_u32_e32 vcc, 0, v5
	s_or_b64 s[2:3], vcc, s[2:3]
	v_add_u32_e32 v0, s19, v0
	s_waitcnt lgkmcnt(0)
	global_store_dwordx2 v[2:3], v[6:7], off
	v_add_co_u32_e32 v2, vcc, s0, v2
	v_addc_co_u32_e32 v3, vcc, v3, v1, vcc
	s_andn2_b64 exec, exec, s[2:3]
	s_cbranch_execnz .LBB9_52
.LBB9_53:
	s_endpgm
	.section	.rodata,"a",@progbits
	.p2align	6, 0x0
	.amdhsa_kernel _ZL26rocblas_trtri_small_kernelILi16E19rocblas_complex_numIfEPKS1_PS1_Ev13rocblas_fill_17rocblas_diagonal_iT1_lillT2_lilli
		.amdhsa_group_segment_fixed_size 2048
		.amdhsa_private_segment_fixed_size 0
		.amdhsa_kernarg_size 100
		.amdhsa_user_sgpr_count 6
		.amdhsa_user_sgpr_private_segment_buffer 1
		.amdhsa_user_sgpr_dispatch_ptr 0
		.amdhsa_user_sgpr_queue_ptr 0
		.amdhsa_user_sgpr_kernarg_segment_ptr 1
		.amdhsa_user_sgpr_dispatch_id 0
		.amdhsa_user_sgpr_flat_scratch_init 0
		.amdhsa_user_sgpr_kernarg_preload_length 0
		.amdhsa_user_sgpr_kernarg_preload_offset 0
		.amdhsa_user_sgpr_private_segment_size 0
		.amdhsa_uses_dynamic_stack 0
		.amdhsa_system_sgpr_private_segment_wavefront_offset 0
		.amdhsa_system_sgpr_workgroup_id_x 1
		.amdhsa_system_sgpr_workgroup_id_y 0
		.amdhsa_system_sgpr_workgroup_id_z 1
		.amdhsa_system_sgpr_workgroup_info 0
		.amdhsa_system_vgpr_workitem_id 0
		.amdhsa_next_free_vgpr 26
		.amdhsa_next_free_sgpr 45
		.amdhsa_accum_offset 28
		.amdhsa_reserve_vcc 1
		.amdhsa_reserve_flat_scratch 0
		.amdhsa_float_round_mode_32 0
		.amdhsa_float_round_mode_16_64 0
		.amdhsa_float_denorm_mode_32 3
		.amdhsa_float_denorm_mode_16_64 3
		.amdhsa_dx10_clamp 1
		.amdhsa_ieee_mode 1
		.amdhsa_fp16_overflow 0
		.amdhsa_tg_split 0
		.amdhsa_exception_fp_ieee_invalid_op 0
		.amdhsa_exception_fp_denorm_src 0
		.amdhsa_exception_fp_ieee_div_zero 0
		.amdhsa_exception_fp_ieee_overflow 0
		.amdhsa_exception_fp_ieee_underflow 0
		.amdhsa_exception_fp_ieee_inexact 0
		.amdhsa_exception_int_div_zero 0
	.end_amdhsa_kernel
	.section	.text._ZL26rocblas_trtri_small_kernelILi16E19rocblas_complex_numIfEPKS1_PS1_Ev13rocblas_fill_17rocblas_diagonal_iT1_lillT2_lilli,"axG",@progbits,_ZL26rocblas_trtri_small_kernelILi16E19rocblas_complex_numIfEPKS1_PS1_Ev13rocblas_fill_17rocblas_diagonal_iT1_lillT2_lilli,comdat
.Lfunc_end9:
	.size	_ZL26rocblas_trtri_small_kernelILi16E19rocblas_complex_numIfEPKS1_PS1_Ev13rocblas_fill_17rocblas_diagonal_iT1_lillT2_lilli, .Lfunc_end9-_ZL26rocblas_trtri_small_kernelILi16E19rocblas_complex_numIfEPKS1_PS1_Ev13rocblas_fill_17rocblas_diagonal_iT1_lillT2_lilli
                                        ; -- End function
	.section	.AMDGPU.csdata,"",@progbits
; Kernel info:
; codeLenInByte = 2416
; NumSgprs: 49
; NumVgprs: 26
; NumAgprs: 0
; TotalNumVgprs: 26
; ScratchSize: 0
; MemoryBound: 0
; FloatMode: 240
; IeeeMode: 1
; LDSByteSize: 2048 bytes/workgroup (compile time only)
; SGPRBlocks: 6
; VGPRBlocks: 3
; NumSGPRsForWavesPerEU: 49
; NumVGPRsForWavesPerEU: 26
; AccumOffset: 28
; Occupancy: 8
; WaveLimiterHint : 0
; COMPUTE_PGM_RSRC2:SCRATCH_EN: 0
; COMPUTE_PGM_RSRC2:USER_SGPR: 6
; COMPUTE_PGM_RSRC2:TRAP_HANDLER: 0
; COMPUTE_PGM_RSRC2:TGID_X_EN: 1
; COMPUTE_PGM_RSRC2:TGID_Y_EN: 0
; COMPUTE_PGM_RSRC2:TGID_Z_EN: 1
; COMPUTE_PGM_RSRC2:TIDIG_COMP_CNT: 0
; COMPUTE_PGM_RSRC3_GFX90A:ACCUM_OFFSET: 6
; COMPUTE_PGM_RSRC3_GFX90A:TG_SPLIT: 0
	.section	.text._ZL29rocblas_trtri_diagonal_kernelILi16E19rocblas_complex_numIfEPKS1_PS1_Ev13rocblas_fill_17rocblas_diagonal_iT1_lillT2_lilli,"axG",@progbits,_ZL29rocblas_trtri_diagonal_kernelILi16E19rocblas_complex_numIfEPKS1_PS1_Ev13rocblas_fill_17rocblas_diagonal_iT1_lillT2_lilli,comdat
	.globl	_ZL29rocblas_trtri_diagonal_kernelILi16E19rocblas_complex_numIfEPKS1_PS1_Ev13rocblas_fill_17rocblas_diagonal_iT1_lillT2_lilli ; -- Begin function _ZL29rocblas_trtri_diagonal_kernelILi16E19rocblas_complex_numIfEPKS1_PS1_Ev13rocblas_fill_17rocblas_diagonal_iT1_lillT2_lilli
	.p2align	8
	.type	_ZL29rocblas_trtri_diagonal_kernelILi16E19rocblas_complex_numIfEPKS1_PS1_Ev13rocblas_fill_17rocblas_diagonal_iT1_lillT2_lilli,@function
_ZL29rocblas_trtri_diagonal_kernelILi16E19rocblas_complex_numIfEPKS1_PS1_Ev13rocblas_fill_17rocblas_diagonal_iT1_lillT2_lilli: ; @_ZL29rocblas_trtri_diagonal_kernelILi16E19rocblas_complex_numIfEPKS1_PS1_Ev13rocblas_fill_17rocblas_diagonal_iT1_lillT2_lilli
; %bb.0:
	s_load_dwordx4 s[20:23], s[4:5], 0x0
	s_waitcnt lgkmcnt(0)
	s_ashr_i32 s0, s22, 31
	s_lshr_b32 s0, s0, 27
	s_add_i32 s0, s22, s0
	s_ashr_i32 s0, s0, 5
	v_cvt_f32_u32_e32 v1, s0
	s_sub_i32 s1, 0, s0
	v_rcp_iflag_f32_e32 v1, v1
	v_mul_f32_e32 v1, 0x4f7ffffe, v1
	v_cvt_u32_f32_e32 v1, v1
	v_readfirstlane_b32 s2, v1
	s_mul_i32 s1, s1, s2
	s_mul_hi_u32 s1, s2, s1
	s_add_i32 s2, s2, s1
	s_mul_hi_u32 s1, s6, s2
	s_mul_i32 s2, s1, s0
	s_sub_i32 s2, s6, s2
	s_add_i32 s3, s1, 1
	s_sub_i32 s8, s2, s0
	s_cmp_ge_u32 s2, s0
	s_cselect_b32 s1, s3, s1
	s_cselect_b32 s2, s8, s2
	s_add_i32 s3, s1, 1
	s_cmp_ge_u32 s2, s0
	s_cselect_b32 s35, s3, s1
	s_mul_i32 s0, s35, s0
	s_sub_i32 s36, s6, s0
	s_lshl_b32 s0, s36, 4
	s_cmp_eq_u32 s22, s0
	s_cbranch_scc1 .LBB10_110
; %bb.1:
	s_sub_i32 s34, s22, s0
	s_min_u32 s33, s34, 16
	s_lshl_b32 s6, s33, 1
	v_cmp_gt_u32_e64 s[8:9], s33, v0
	v_cmp_le_u32_e64 s[0:1], s33, v0
	v_cmp_gt_u32_e64 s[2:3], s6, v0
	v_cmp_le_u32_e32 vcc, s6, v0
	v_mov_b32_e32 v2, v0
	s_and_saveexec_b64 s[10:11], s[0:1]
	s_cbranch_execz .LBB10_7
; %bb.2:
                                        ; implicit-def: $vgpr2
	s_and_saveexec_b64 s[12:13], vcc
	s_xor_b64 s[12:13], exec, s[12:13]
; %bb.3:
	v_subrev_u32_e32 v2, s6, v0
; %bb.4:
	s_andn2_saveexec_b64 s[12:13], s[12:13]
; %bb.5:
	v_subrev_u32_e32 v2, s33, v0
; %bb.6:
	s_or_b64 exec, exec, s[12:13]
.LBB10_7:
	s_or_b64 exec, exec, s[10:11]
	s_load_dwordx4 s[24:27], s[4:5], 0x10
	s_load_dword s10, s[4:5], 0x20
	s_load_dwordx8 s[12:19], s[4:5], 0x28
	v_mov_b32_e32 v1, 0x1800
	v_cndmask_b32_e64 v1, 0, v1, s[2:3]
	v_mov_b32_e32 v3, 0x1000
	v_cndmask_b32_e64 v14, v1, v3, s[8:9]
	s_waitcnt lgkmcnt(0)
	s_ashr_i32 s11, s10, 31
	s_mul_i32 s6, s7, s13
	s_mul_hi_u32 s8, s7, s12
	s_add_i32 s9, s8, s6
	s_mul_i32 s8, s7, s12
	s_lshl_b64 s[12:13], s[10:11], 5
	s_add_u32 s6, s12, 32
	s_addc_u32 s12, s13, 0
	s_mul_i32 s12, s12, s36
	s_mul_hi_u32 s13, s6, s36
	s_add_i32 s13, s13, s12
	s_mul_i32 s12, s6, s36
	s_mul_i32 s6, s35, s15
	s_mul_hi_u32 s15, s35, s14
	s_add_i32 s15, s15, s6
	s_mul_i32 s14, s35, s14
	s_and_saveexec_b64 s[22:23], vcc
	s_xor_b64 s[22:23], exec, s[22:23]
	s_cbranch_execz .LBB10_17
; %bb.8:
	s_mul_i32 s6, s33, 3
	v_cmp_gt_u32_e32 vcc, s6, v0
	s_and_saveexec_b64 s[28:29], vcc
	s_cbranch_execz .LBB10_16
; %bb.9:
	s_cmpk_eq_i32 s20, 0x7a
	s_mov_b64 s[30:31], -1
	s_cbranch_scc1 .LBB10_13
; %bb.10:
	s_add_i32 s38, s33, -1
	s_mul_i32 s30, s33, s38
	s_lshl_b32 s30, s30, 3
	v_lshlrev_b32_e32 v1, 3, v2
	s_lshl_b32 s31, s33, 3
	s_add_i32 s6, s33, 1
	v_add3_u32 v1, s30, v1, v14
	s_sub_i32 s30, 0, s31
	s_lshl_b64 s[40:41], s[14:15], 3
	s_lshl_b64 s[42:43], s[8:9], 3
	s_add_u32 s37, s40, s42
	s_addc_u32 s42, s41, s43
	s_lshl_b64 s[40:41], s[12:13], 3
	s_mov_b32 s39, 0
	s_add_u32 s37, s37, s40
	s_addc_u32 s40, s42, s41
	s_lshl_b64 s[38:39], s[38:39], 3
	s_add_u32 s31, s31, s38
	s_addc_u32 s38, 0, s39
	s_mul_i32 s39, s31, s11
	s_mul_hi_u32 s41, s31, s10
	s_add_i32 s39, s41, s39
	s_mul_i32 s38, s38, s10
	s_add_i32 s39, s39, s38
	s_mul_i32 s31, s31, s10
	s_add_u32 s31, s37, s31
	s_addc_u32 s37, s40, s39
	s_lshl_b64 s[38:39], s[26:27], 3
	s_add_u32 s31, s31, s38
	s_addc_u32 s37, s37, s39
	v_ashrrev_i32_e32 v3, 31, v2
	s_add_u32 s31, s24, s31
	v_lshlrev_b64 v[4:5], 3, v[2:3]
	s_addc_u32 s37, s25, s37
	s_lshl_b64 s[38:39], s[10:11], 3
	v_add_co_u32_e32 v4, vcc, s31, v4
	s_sub_u32 s31, 0, s38
	v_mov_b32_e32 v3, s37
	s_subb_u32 s37, 0, s39
	v_addc_co_u32_e32 v5, vcc, v3, v5, vcc
	v_mov_b32_e32 v3, s37
.LBB10_11:                              ; =>This Inner Loop Header: Depth=1
	global_load_dwordx2 v[6:7], v[4:5], off
	s_add_i32 s6, s6, -1
	v_add_co_u32_e32 v4, vcc, s31, v4
	v_addc_co_u32_e32 v5, vcc, v5, v3, vcc
	s_cmp_gt_u32 s6, 1
	s_waitcnt vmcnt(0)
	ds_write_b64 v1, v[6:7]
	v_add_u32_e32 v1, s30, v1
	s_cbranch_scc1 .LBB10_11
; %bb.12:
	s_mov_b64 s[30:31], 0
.LBB10_13:
	s_and_b64 vcc, exec, s[30:31]
	s_cbranch_vccz .LBB10_16
; %bb.14:
	s_lshl_b64 s[30:31], s[8:9], 3
	s_add_u32 s6, s24, s30
	s_addc_u32 s37, s25, s31
	s_lshl_b64 s[30:31], s[26:27], 3
	s_add_u32 s6, s6, s30
	s_addc_u32 s37, s37, s31
	;; [unrolled: 3-line block ×3, first 2 shown]
	s_lshl_b64 s[30:31], s[14:15], 3
	v_add_u32_e32 v4, s33, v2
	s_add_u32 s6, s6, s30
	v_ashrrev_i32_e32 v5, 31, v4
	s_addc_u32 s30, s37, s31
	v_lshlrev_b64 v[4:5], 3, v[4:5]
	v_mov_b32_e32 v1, s30
	v_add_co_u32_e32 v4, vcc, s6, v4
	s_lshl_b64 s[30:31], s[10:11], 3
	v_addc_co_u32_e32 v5, vcc, v1, v5, vcc
	v_lshl_add_u32 v1, v2, 3, v14
	s_lshl_b32 s6, s33, 3
	v_mov_b32_e32 v3, s31
	s_mov_b32 s31, s33
.LBB10_15:                              ; =>This Inner Loop Header: Depth=1
	global_load_dwordx2 v[6:7], v[4:5], off
	s_add_i32 s31, s31, -1
	v_add_co_u32_e32 v4, vcc, s30, v4
	v_addc_co_u32_e32 v5, vcc, v5, v3, vcc
	s_cmp_eq_u32 s31, 0
	s_waitcnt vmcnt(0)
	ds_write_b64 v1, v[6:7]
	v_add_u32_e32 v1, s6, v1
	s_cbranch_scc0 .LBB10_15
.LBB10_16:
	s_or_b64 exec, exec, s[28:29]
.LBB10_17:
	s_andn2_saveexec_b64 s[22:23], s[22:23]
	s_cbranch_execz .LBB10_31
; %bb.18:
	v_pk_mov_b32 v[4:5], 0, 0
	s_and_saveexec_b64 s[28:29], s[0:1]
; %bb.19:
	s_add_u32 s6, s10, 1
	s_addc_u32 s30, s11, 0
	s_mul_i32 s30, s30, s33
	s_mul_hi_u32 s31, s6, s33
	s_add_i32 s31, s31, s30
	s_mul_i32 s30, s6, s33
	v_pk_mov_b32 v[4:5], s[30:31], s[30:31] op_sel:[0,1]
; %bb.20:
	s_or_b64 exec, exec, s[28:29]
	s_mov_b64 s[28:29], -1
	s_cmpk_lg_i32 s20, 0x7a
	v_lshlrev_b64 v[4:5], 3, v[4:5]
	s_cbranch_scc0 .LBB10_26
; %bb.21:
	s_add_i32 s6, s33, -1
	s_lshl_b32 s30, s33, 3
	s_lshl_b64 s[28:29], s[14:15], 3
	s_lshl_b64 s[38:39], s[8:9], 3
	s_add_u32 s31, s28, s38
	s_addc_u32 s37, s29, s39
	s_lshl_b64 s[28:29], s[12:13], 3
	s_add_u32 s31, s31, s28
	s_addc_u32 s37, s37, s29
	s_mul_i32 s28, s11, s6
	s_mul_hi_u32 s29, s10, s6
	s_add_i32 s29, s29, s28
	s_mul_i32 s28, s10, s6
	s_lshl_b64 s[28:29], s[28:29], 3
	s_add_u32 s31, s31, s28
	s_addc_u32 s37, s37, s29
	s_lshl_b64 s[28:29], s[26:27], 3
	s_add_u32 s28, s28, s31
	s_addc_u32 s29, s29, s37
	v_ashrrev_i32_e32 v3, 31, v2
	v_mov_b32_e32 v6, s29
	v_add_co_u32_e32 v8, vcc, s28, v4
	v_addc_co_u32_e32 v9, vcc, v6, v5, vcc
	v_lshlrev_b64 v[6:7], 3, v[2:3]
	v_add_co_u32_e32 v3, vcc, v8, v6
	s_lshl_b64 s[28:29], s[10:11], 3
	v_addc_co_u32_e32 v7, vcc, v9, v7, vcc
	s_sub_u32 s31, 0, s28
	v_sub_u32_e32 v1, s6, v2
	v_mov_b32_e32 v8, s25
	v_add_co_u32_e32 v6, vcc, s24, v3
	s_subb_u32 s28, 0, s29
	v_lshl_add_u32 v1, v1, 3, v14
	v_addc_co_u32_e32 v7, vcc, v8, v7, vcc
	v_mov_b32_e32 v3, s28
	s_branch .LBB10_23
.LBB10_22:                              ;   in Loop: Header=BB10_23 Depth=1
	s_or_b64 exec, exec, s[28:29]
	s_add_i32 s6, s6, -1
	v_add_co_u32_e32 v6, vcc, s31, v6
	s_waitcnt vmcnt(0)
	ds_write_b64 v1, v[8:9]
	v_add_u32_e32 v1, s30, v1
	s_cmp_eq_u32 s6, -1
	v_addc_co_u32_e32 v7, vcc, v7, v3, vcc
	s_cbranch_scc1 .LBB10_25
.LBB10_23:                              ; =>This Inner Loop Header: Depth=1
	v_cmp_ge_i32_e32 vcc, s6, v2
	v_mov_b32_e32 v8, 0
	v_mov_b32_e32 v9, 0
	s_and_saveexec_b64 s[28:29], vcc
	s_cbranch_execz .LBB10_22
; %bb.24:                               ;   in Loop: Header=BB10_23 Depth=1
	global_load_dwordx2 v[8:9], v[6:7], off
	s_branch .LBB10_22
.LBB10_25:
	s_mov_b64 s[28:29], 0
.LBB10_26:
	s_and_b64 vcc, exec, s[28:29]
	s_cbranch_vccz .LBB10_31
; %bb.27:
	s_lshl_b32 s6, s33, 3
	s_lshl_b64 s[14:15], s[14:15], 3
	s_lshl_b64 s[8:9], s[8:9], 3
	s_add_u32 s14, s14, s8
	s_addc_u32 s15, s15, s9
	s_lshl_b64 s[8:9], s[12:13], 3
	s_add_u32 s12, s14, s8
	s_addc_u32 s13, s15, s9
	;; [unrolled: 3-line block ×3, first 2 shown]
	v_ashrrev_i32_e32 v3, 31, v2
	v_mov_b32_e32 v6, s9
	v_add_co_u32_e32 v7, vcc, s8, v4
	v_addc_co_u32_e32 v6, vcc, v6, v5, vcc
	v_lshlrev_b64 v[4:5], 3, v[2:3]
	v_add_co_u32_e32 v3, vcc, v7, v4
	v_addc_co_u32_e32 v5, vcc, v6, v5, vcc
	v_mov_b32_e32 v6, s25
	v_add_co_u32_e32 v4, vcc, s24, v3
	s_lshl_b64 s[8:9], s[10:11], 3
	v_lshl_add_u32 v1, v2, 3, v14
	v_addc_co_u32_e32 v5, vcc, v6, v5, vcc
	s_mov_b32 s12, 0
	v_mov_b32_e32 v3, s9
	s_branch .LBB10_29
.LBB10_28:                              ;   in Loop: Header=BB10_29 Depth=1
	s_or_b64 exec, exec, s[10:11]
	s_add_i32 s12, s12, 1
	v_add_co_u32_e32 v4, vcc, s8, v4
	s_waitcnt vmcnt(0)
	ds_write_b64 v1, v[6:7]
	v_add_u32_e32 v1, s6, v1
	s_cmp_eq_u32 s33, s12
	v_addc_co_u32_e32 v5, vcc, v5, v3, vcc
	s_cbranch_scc1 .LBB10_31
.LBB10_29:                              ; =>This Inner Loop Header: Depth=1
	v_cmp_le_i32_e32 vcc, s12, v2
	v_mov_b32_e32 v6, 0
	v_mov_b32_e32 v7, 0
	s_and_saveexec_b64 s[10:11], vcc
	s_cbranch_execz .LBB10_28
; %bb.30:                               ;   in Loop: Header=BB10_29 Depth=1
	global_load_dwordx2 v[6:7], v[4:5], off
	s_branch .LBB10_28
.LBB10_31:
	s_or_b64 exec, exec, s[22:23]
	s_waitcnt lgkmcnt(0)
	s_barrier
	s_and_saveexec_b64 s[10:11], s[2:3]
	s_cbranch_execz .LBB10_44
; %bb.32:
	s_add_i32 s6, s33, 1
	v_mul_i32_i24_e32 v1, s6, v2
	s_cmpk_lg_i32 s21, 0x84
	v_lshl_add_u32 v1, v1, 3, v14
	s_mov_b64 s[8:9], -1
	s_cbranch_scc0 .LBB10_42
; %bb.33:
	ds_read_b64 v[4:5], v1
	s_waitcnt lgkmcnt(0)
	v_cmp_neq_f32_e32 vcc, 0, v4
	v_cmp_neq_f32_e64 s[8:9], 0, v5
	s_or_b64 s[8:9], vcc, s[8:9]
	s_and_saveexec_b64 s[12:13], s[8:9]
	s_xor_b64 s[8:9], exec, s[12:13]
	s_cbranch_execz .LBB10_39
; %bb.34:
	v_cmp_gt_f32_e32 vcc, 0, v5
	v_cndmask_b32_e64 v3, v5, -v5, vcc
	v_cmp_gt_f32_e32 vcc, 0, v4
	v_cndmask_b32_e64 v6, v4, -v4, vcc
	v_cmp_ngt_f32_e32 vcc, v6, v3
                                        ; implicit-def: $vgpr6_vgpr7
	s_and_saveexec_b64 s[12:13], vcc
	s_xor_b64 s[12:13], exec, s[12:13]
	s_cbranch_execz .LBB10_36
; %bb.35:
	v_div_scale_f32 v3, s[14:15], v5, v5, v4
	v_rcp_f32_e32 v6, v3
	v_div_scale_f32 v7, vcc, v4, v5, v4
	v_fma_f32 v8, -v3, v6, 1.0
	v_fmac_f32_e32 v6, v8, v6
	v_mul_f32_e32 v8, v7, v6
	v_fma_f32 v9, -v3, v8, v7
	v_fmac_f32_e32 v8, v9, v6
	v_fma_f32 v3, -v3, v8, v7
	v_div_fmas_f32 v3, v3, v6, v8
	v_div_fixup_f32 v3, v3, v5, v4
	v_fmac_f32_e32 v5, v4, v3
	v_div_scale_f32 v4, s[14:15], v5, v5, 1.0
	v_rcp_f32_e32 v6, v4
	v_fma_f32 v7, -v4, v6, 1.0
	v_fmac_f32_e32 v6, v7, v6
	v_div_scale_f32 v7, vcc, 1.0, v5, 1.0
	v_mul_f32_e32 v8, v7, v6
	v_fma_f32 v9, -v4, v8, v7
	v_fmac_f32_e32 v8, v9, v6
	v_fma_f32 v4, -v4, v8, v7
	v_div_fmas_f32 v4, v4, v6, v8
	v_div_fixup_f32 v4, v4, v5, 1.0
	v_mul_f32_e32 v6, v3, v4
	v_xor_b32_e32 v7, 0x80000000, v4
                                        ; implicit-def: $vgpr4_vgpr5
.LBB10_36:
	s_andn2_saveexec_b64 s[12:13], s[12:13]
	s_cbranch_execz .LBB10_38
; %bb.37:
	v_div_scale_f32 v3, s[14:15], v4, v4, v5
	v_rcp_f32_e32 v6, v3
	v_div_scale_f32 v7, vcc, v5, v4, v5
	v_fma_f32 v8, -v3, v6, 1.0
	v_fmac_f32_e32 v6, v8, v6
	v_mul_f32_e32 v8, v7, v6
	v_fma_f32 v9, -v3, v8, v7
	v_fmac_f32_e32 v8, v9, v6
	v_fma_f32 v3, -v3, v8, v7
	v_div_fmas_f32 v3, v3, v6, v8
	v_div_fixup_f32 v3, v3, v4, v5
	v_fmac_f32_e32 v4, v5, v3
	v_div_scale_f32 v5, s[14:15], v4, v4, 1.0
	v_rcp_f32_e32 v6, v5
	v_fma_f32 v7, -v5, v6, 1.0
	v_fmac_f32_e32 v6, v7, v6
	v_div_scale_f32 v7, vcc, 1.0, v4, 1.0
	v_mul_f32_e32 v8, v7, v6
	v_fma_f32 v9, -v5, v8, v7
	v_fmac_f32_e32 v8, v9, v6
	v_fma_f32 v5, -v5, v8, v7
	v_div_fmas_f32 v5, v5, v6, v8
	v_div_fixup_f32 v6, v5, v4, 1.0
	v_mul_f32_e64 v7, v3, -v6
.LBB10_38:
	s_or_b64 exec, exec, s[12:13]
	ds_write_b64 v1, v[6:7]
.LBB10_39:
	s_andn2_saveexec_b64 s[8:9], s[8:9]
	s_cbranch_execz .LBB10_41
; %bb.40:
	v_mov_b32_e32 v4, 1.0
	v_mov_b32_e32 v5, 0
	ds_write_b64 v1, v[4:5]
.LBB10_41:
	s_or_b64 exec, exec, s[8:9]
	s_mov_b64 s[8:9], 0
.LBB10_42:
	s_andn2_b64 vcc, exec, s[8:9]
	s_cbranch_vccnz .LBB10_44
; %bb.43:
	v_mov_b32_e32 v4, 1.0
	v_mov_b32_e32 v5, 0
	ds_write_b64 v1, v[4:5]
.LBB10_44:
	s_or_b64 exec, exec, s[10:11]
	s_waitcnt lgkmcnt(0)
	s_barrier
	s_and_saveexec_b64 s[8:9], s[2:3]
	s_cbranch_execz .LBB10_56
; %bb.45:
	s_add_i32 s6, s33, 1
	v_lshlrev_b32_e32 v5, 3, v2
	v_mul_i32_i24_e32 v3, s6, v2
	s_lshl_b32 s6, s33, 3
	v_add_u32_e32 v1, v14, v5
	v_lshl_add_u32 v3, v3, 3, v14
	v_add_u32_e32 v4, 8, v14
	s_add_i32 s12, s6, 8
	v_add3_u32 v5, v5, s6, v14
	s_mov_b32 s13, 0
	s_branch .LBB10_47
.LBB10_46:                              ;   in Loop: Header=BB10_47 Depth=1
	v_add_u32_e32 v4, s12, v4
	s_cmp_eq_u32 s13, s33
	v_add_u32_e32 v5, s6, v5
	s_cbranch_scc1 .LBB10_56
.LBB10_47:                              ; =>This Loop Header: Depth=1
                                        ;     Child Loop BB10_52 Depth 2
	v_cmp_lt_i32_e32 vcc, s13, v2
	v_mov_b32_e32 v6, 0
	s_mul_i32 s14, s13, s33
	v_mov_b32_e32 v7, 0
	s_and_saveexec_b64 s[10:11], vcc
	s_cbranch_execz .LBB10_49
; %bb.48:                               ;   in Loop: Header=BB10_47 Depth=1
	s_lshl_b32 s15, s14, 3
	s_lshl_b32 s21, s13, 3
	v_add_u32_e32 v6, s15, v1
	s_add_i32 s15, s15, s21
	v_add_u32_e32 v8, s15, v14
	ds_read_b64 v[6:7], v6
	ds_read_b64 v[8:9], v8
	s_waitcnt lgkmcnt(0)
	v_mul_f32_e32 v10, v9, v7
	v_mul_f32_e32 v7, v8, v7
	v_fma_f32 v8, v8, v6, -v10
	v_fmac_f32_e32 v7, v9, v6
	v_add_f32_e32 v6, 0, v8
	v_add_f32_e32 v7, 0, v7
.LBB10_49:                              ;   in Loop: Header=BB10_47 Depth=1
	s_or_b64 exec, exec, s[10:11]
	s_add_i32 s13, s13, 1
	s_cmp_ge_u32 s13, s33
	s_cbranch_scc1 .LBB10_46
; %bb.50:                               ;   in Loop: Header=BB10_47 Depth=1
	v_lshl_add_u32 v8, s14, 3, v1
	v_mov_b32_e32 v9, v5
	v_mov_b32_e32 v10, v4
	s_mov_b32 s14, s13
	s_branch .LBB10_52
.LBB10_51:                              ;   in Loop: Header=BB10_52 Depth=2
	s_or_b64 exec, exec, s[10:11]
	s_add_i32 s14, s14, 1
	v_add_u32_e32 v10, 8, v10
	s_cmp_ge_u32 s14, s33
	v_add_u32_e32 v9, s6, v9
	s_cbranch_scc1 .LBB10_46
.LBB10_52:                              ;   Parent Loop BB10_47 Depth=1
                                        ; =>  This Inner Loop Header: Depth=2
	v_cmp_eq_u32_e32 vcc, s14, v2
	s_and_saveexec_b64 s[10:11], vcc
	s_cbranch_execz .LBB10_54
; %bb.53:                               ;   in Loop: Header=BB10_52 Depth=2
	ds_read_b64 v[12:13], v3
	v_sub_f32_e32 v11, 0, v6
	s_waitcnt lgkmcnt(0)
	v_mul_f32_e32 v16, v7, v13
	v_mul_f32_e32 v15, v7, v12
	v_fmac_f32_e32 v16, v11, v12
	v_fma_f32 v17, -v6, v13, -v15
	ds_write_b64 v8, v[16:17]
.LBB10_54:                              ;   in Loop: Header=BB10_52 Depth=2
	s_or_b64 exec, exec, s[10:11]
	v_cmp_lt_i32_e32 vcc, s14, v2
	s_and_saveexec_b64 s[10:11], vcc
	s_cbranch_execz .LBB10_51
; %bb.55:                               ;   in Loop: Header=BB10_52 Depth=2
	ds_read_b64 v[12:13], v9
	ds_read_b64 v[16:17], v10
	s_waitcnt lgkmcnt(0)
	v_mul_f32_e32 v11, v17, v13
	v_mul_f32_e32 v13, v16, v13
	v_fma_f32 v11, v16, v12, -v11
	v_fmac_f32_e32 v13, v17, v12
	v_add_f32_e32 v6, v6, v11
	v_add_f32_e32 v7, v7, v13
	s_branch .LBB10_51
.LBB10_56:
	s_or_b64 exec, exec, s[8:9]
	s_and_b32 s6, s33, 0xffff
	v_cvt_f32_u32_e32 v1, s6
	v_cvt_f32_ubyte0_e32 v3, v0
	s_cmpk_lg_i32 s20, 0x7a
	s_cselect_b64 s[10:11], -1, 0
	v_rcp_iflag_f32_e32 v4, v1
	s_mul_i32 s6, s33, s33
	v_cmp_gt_u32_e64 s[8:9], s6, v0
	s_waitcnt lgkmcnt(0)
	v_mul_f32_e32 v4, v3, v4
	v_trunc_f32_e32 v4, v4
	v_cvt_u32_f32_e32 v5, v4
	v_mad_f32 v3, -v4, v1, v3
	v_cmp_ge_f32_e64 vcc, |v3|, v1
	s_barrier
	v_addc_co_u32_e32 v1, vcc, 0, v5, vcc
	v_and_b32_e32 v15, 0xffff, v1
	v_mul_lo_u16_e32 v1, s33, v1
	v_sub_u16_e32 v3, v0, v1
	s_and_b64 vcc, exec, s[10:11]
	s_cbranch_vccz .LBB10_68
; %bb.57:
	s_mov_b64 s[12:13], 0
	s_mov_b64 s[20:21], 0
                                        ; implicit-def: $vgpr1
                                        ; implicit-def: $vgpr4
	s_and_saveexec_b64 s[14:15], s[8:9]
	s_cbranch_execz .LBB10_67
; %bb.58:
	s_mov_b32 s20, 0
	s_mov_b32 s21, s20
	v_add_u32_e32 v6, 1, v15
	v_cmp_lt_u16_e32 vcc, 6, v15
	v_pk_mov_b32 v[0:1], s[20:21], s[20:21] op_sel:[0,1]
	v_mov_b32_e32 v4, 0
	v_lshlrev_b32_e32 v5, 7, v15
	s_and_saveexec_b64 s[22:23], vcc
	s_cbranch_execz .LBB10_62
; %bb.59:
	v_mov_b32_e32 v0, 0
	v_and_b32_e32 v4, 0x7f8, v6
	v_lshlrev_b32_e32 v7, 3, v3
	v_sub_u32_e32 v8, 0x1fc0, v5
	s_mov_b64 s[24:25], 0
	v_mov_b32_e32 v1, v0
.LBB10_60:                              ; =>This Inner Loop Header: Depth=1
	ds_read2_b64 v[10:13], v7 offset1:16
	ds_read_b128 v[16:19], v8
	ds_read_b128 v[20:23], v8 offset:16
	ds_read_b128 v[24:27], v8 offset:32
	;; [unrolled: 1-line block ×3, first 2 shown]
	ds_read2_b64 v[32:35], v7 offset0:32 offset1:48
	ds_read2_b64 v[36:39], v7 offset0:64 offset1:80
	ds_read2_b64 v[40:43], v7 offset0:96 offset1:112
	s_add_i32 s20, s20, 8
	s_waitcnt lgkmcnt(3)
	v_pk_mul_f32 v[44:45], v[30:31], v[10:11] op_sel:[0,1]
	v_pk_mul_f32 v[46:47], v[28:29], v[12:13] op_sel:[0,1]
	v_pk_fma_f32 v[60:61], v[30:31], v[10:11], v[44:45] op_sel:[0,0,1] op_sel_hi:[1,1,0] neg_lo:[0,0,1] neg_hi:[0,0,1]
	v_pk_fma_f32 v[10:11], v[30:31], v[10:11], v[44:45] op_sel:[0,0,1] op_sel_hi:[1,0,0]
	s_waitcnt lgkmcnt(2)
	v_pk_mul_f32 v[48:49], v[26:27], v[32:33] op_sel:[0,1]
	v_pk_fma_f32 v[30:31], v[28:29], v[12:13], v[46:47] op_sel:[0,0,1] op_sel_hi:[1,1,0] neg_lo:[0,0,1] neg_hi:[0,0,1]
	v_pk_fma_f32 v[12:13], v[28:29], v[12:13], v[46:47] op_sel:[0,0,1] op_sel_hi:[1,0,0]
	v_mov_b32_e32 v61, v11
	v_pk_mul_f32 v[50:51], v[24:25], v[34:35] op_sel:[0,1]
	v_pk_fma_f32 v[28:29], v[26:27], v[32:33], v[48:49] op_sel:[0,0,1] op_sel_hi:[1,1,0] neg_lo:[0,0,1] neg_hi:[0,0,1]
	v_pk_fma_f32 v[26:27], v[26:27], v[32:33], v[48:49] op_sel:[0,0,1] op_sel_hi:[1,0,0]
	v_mov_b32_e32 v31, v13
	v_pk_add_f32 v[0:1], v[0:1], v[60:61]
	s_waitcnt lgkmcnt(1)
	v_pk_mul_f32 v[52:53], v[22:23], v[36:37] op_sel:[0,1]
	v_pk_fma_f32 v[32:33], v[24:25], v[34:35], v[50:51] op_sel:[0,0,1] op_sel_hi:[1,1,0] neg_lo:[0,0,1] neg_hi:[0,0,1]
	v_pk_fma_f32 v[24:25], v[24:25], v[34:35], v[50:51] op_sel:[0,0,1] op_sel_hi:[1,0,0]
	v_mov_b32_e32 v29, v27
	v_pk_add_f32 v[0:1], v[0:1], v[30:31]
	v_pk_mul_f32 v[54:55], v[20:21], v[38:39] op_sel:[0,1]
	v_pk_fma_f32 v[34:35], v[22:23], v[36:37], v[52:53] op_sel:[0,0,1] op_sel_hi:[1,1,0] neg_lo:[0,0,1] neg_hi:[0,0,1]
	v_pk_fma_f32 v[22:23], v[22:23], v[36:37], v[52:53] op_sel:[0,0,1] op_sel_hi:[1,0,0]
	v_mov_b32_e32 v33, v25
	v_pk_add_f32 v[0:1], v[0:1], v[28:29]
	s_waitcnt lgkmcnt(0)
	v_pk_mul_f32 v[56:57], v[18:19], v[40:41] op_sel:[0,1]
	v_pk_fma_f32 v[36:37], v[20:21], v[38:39], v[54:55] op_sel:[0,0,1] op_sel_hi:[1,1,0] neg_lo:[0,0,1] neg_hi:[0,0,1]
	v_pk_fma_f32 v[20:21], v[20:21], v[38:39], v[54:55] op_sel:[0,0,1] op_sel_hi:[1,0,0]
	v_mov_b32_e32 v35, v23
	v_pk_add_f32 v[0:1], v[0:1], v[32:33]
	v_pk_mul_f32 v[58:59], v[16:17], v[42:43] op_sel:[0,1]
	v_pk_fma_f32 v[38:39], v[18:19], v[40:41], v[56:57] op_sel:[0,0,1] op_sel_hi:[1,1,0] neg_lo:[0,0,1] neg_hi:[0,0,1]
	v_pk_fma_f32 v[18:19], v[18:19], v[40:41], v[56:57] op_sel:[0,0,1] op_sel_hi:[1,0,0]
	v_mov_b32_e32 v37, v21
	v_pk_add_f32 v[0:1], v[0:1], v[34:35]
	v_pk_fma_f32 v[40:41], v[16:17], v[42:43], v[58:59] op_sel:[0,0,1] op_sel_hi:[1,1,0] neg_lo:[0,0,1] neg_hi:[0,0,1]
	v_pk_fma_f32 v[16:17], v[16:17], v[42:43], v[58:59] op_sel:[0,0,1] op_sel_hi:[1,0,0]
	v_mov_b32_e32 v39, v19
	v_pk_add_f32 v[0:1], v[0:1], v[36:37]
	v_cmp_eq_u32_e32 vcc, s20, v4
	v_mov_b32_e32 v41, v17
	v_pk_add_f32 v[0:1], v[0:1], v[38:39]
	v_add_u32_e32 v7, 0x400, v7
	v_subrev_u32_e32 v8, 64, v8
	s_or_b64 s[24:25], vcc, s[24:25]
	v_pk_add_f32 v[0:1], v[0:1], v[40:41]
	s_andn2_b64 exec, exec, s[24:25]
	s_cbranch_execnz .LBB10_60
; %bb.61:
	s_or_b64 exec, exec, s[24:25]
.LBB10_62:
	s_or_b64 exec, exec, s[22:23]
	v_and_b32_e32 v6, 7, v6
	v_cmp_ne_u32_e32 vcc, 0, v6
	s_and_saveexec_b64 s[20:21], vcc
	s_cbranch_execz .LBB10_66
; %bb.63:
	v_lshl_add_u32 v5, v4, 3, v5
	v_lshlrev_b32_e32 v7, 3, v3
	v_sub_u32_e32 v5, 0x1ff8, v5
	v_lshl_add_u32 v4, v4, 7, v7
	s_mov_b64 s[22:23], 0
.LBB10_64:                              ; =>This Inner Loop Header: Depth=1
	ds_read_b64 v[8:9], v4
	ds_read_b64 v[10:11], v5
	v_add_u32_e32 v6, -1, v6
	v_cmp_eq_u32_e32 vcc, 0, v6
	v_add_u32_e32 v5, -8, v5
	v_add_u32_e32 v4, 0x80, v4
	s_waitcnt lgkmcnt(0)
	v_pk_mul_f32 v[12:13], v[10:11], v[8:9] op_sel:[0,1]
	v_pk_fma_f32 v[16:17], v[10:11], v[8:9], v[12:13] op_sel:[0,0,1] op_sel_hi:[1,1,0] neg_lo:[0,0,1] neg_hi:[0,0,1]
	v_pk_fma_f32 v[8:9], v[10:11], v[8:9], v[12:13] op_sel:[0,0,1] op_sel_hi:[1,0,0]
	v_mov_b32_e32 v17, v9
	s_or_b64 s[22:23], vcc, s[22:23]
	v_pk_add_f32 v[0:1], v[0:1], v[16:17]
	s_andn2_b64 exec, exec, s[22:23]
	s_cbranch_execnz .LBB10_64
; %bb.65:
	s_or_b64 exec, exec, s[22:23]
.LBB10_66:
	s_or_b64 exec, exec, s[20:21]
	s_mov_b64 s[20:21], exec
	v_lshlrev_b32_e32 v4, 4, v15
.LBB10_67:
	s_or_b64 exec, exec, s[14:15]
	s_and_b64 vcc, exec, s[12:13]
	s_cbranch_vccnz .LBB10_69
	s_branch .LBB10_76
.LBB10_68:
	s_mov_b64 s[20:21], 0
                                        ; implicit-def: $vgpr1
                                        ; implicit-def: $vgpr4
	s_cbranch_execz .LBB10_76
.LBB10_69:
                                        ; implicit-def: $vgpr1
                                        ; implicit-def: $vgpr4
	s_and_saveexec_b64 s[12:13], s[8:9]
	s_cbranch_execz .LBB10_75
; %bb.70:
	v_mov_b32_e32 v1, 0
	v_cmp_gt_u16_e32 vcc, 16, v15
	v_mov_b32_e32 v0, v1
	s_and_saveexec_b64 s[14:15], vcc
	s_cbranch_execz .LBB10_74
; %bb.71:
	v_lshlrev_b32_e32 v0, 3, v3
	v_lshl_add_u32 v4, v15, 7, v0
	s_movk_i32 s6, 0x88
	v_mov_b32_e32 v0, 0x1000
	v_mad_u32_u24 v6, v15, s6, v0
	v_mov_b32_e32 v0, 0
	v_add_u32_e32 v5, -1, v15
	s_mov_b64 s[22:23], 0
	v_mov_b32_e32 v1, v0
.LBB10_72:                              ; =>This Inner Loop Header: Depth=1
	ds_read_b64 v[8:9], v4
	ds_read_b64 v[10:11], v6
	v_add_u32_e32 v5, 1, v5
	v_cmp_lt_u32_e32 vcc, 14, v5
	v_add_u32_e32 v4, 0x80, v4
	v_add_u32_e32 v6, 8, v6
	s_waitcnt lgkmcnt(0)
	v_pk_mul_f32 v[12:13], v[10:11], v[8:9] op_sel:[0,1]
	v_pk_fma_f32 v[16:17], v[10:11], v[8:9], v[12:13] op_sel:[0,0,1] op_sel_hi:[1,1,0] neg_lo:[0,0,1] neg_hi:[0,0,1]
	v_pk_fma_f32 v[8:9], v[10:11], v[8:9], v[12:13] op_sel:[0,0,1] op_sel_hi:[1,0,0]
	v_mov_b32_e32 v17, v9
	s_or_b64 s[22:23], vcc, s[22:23]
	v_pk_add_f32 v[0:1], v[0:1], v[16:17]
	s_andn2_b64 exec, exec, s[22:23]
	s_cbranch_execnz .LBB10_72
; %bb.73:
	s_or_b64 exec, exec, s[22:23]
.LBB10_74:
	s_or_b64 exec, exec, s[14:15]
	v_lshlrev_b32_e32 v4, 4, v15
	s_or_b64 s[20:21], s[20:21], exec
.LBB10_75:
	s_or_b64 exec, exec, s[12:13]
.LBB10_76:
	s_and_saveexec_b64 s[12:13], s[20:21]
	s_cbranch_execz .LBB10_78
; %bb.77:
	v_add_lshl_u32 v4, v4, v3, 3
	ds_write_b64 v4, v[0:1] offset:2048
.LBB10_78:
	s_or_b64 exec, exec, s[12:13]
	s_load_dword s12, s[4:5], 0x48
	s_load_dwordx4 s[20:23], s[4:5], 0x50
	s_waitcnt lgkmcnt(0)
	s_barrier
	s_ashr_i32 s13, s12, 31
	s_mul_i32 s5, s7, s21
	s_mul_hi_u32 s6, s7, s20
	s_mul_i32 s4, s7, s20
	s_add_i32 s5, s6, s5
	s_lshl_b64 s[6:7], s[4:5], 3
	s_add_u32 s14, s16, s6
	s_addc_u32 s15, s17, s7
	s_lshl_b64 s[4:5], s[18:19], 3
	s_add_u32 s18, s14, s4
	s_addc_u32 s19, s15, s5
	;; [unrolled: 3-line block ×3, first 2 shown]
	s_mul_i32 s15, s15, s36
	s_mul_hi_u32 s20, s14, s36
	s_add_i32 s15, s20, s15
	s_mul_i32 s14, s14, s36
	s_lshl_b64 s[14:15], s[14:15], 3
	s_add_u32 s20, s18, s14
	s_addc_u32 s21, s19, s15
	s_mul_i32 s18, s35, s23
	s_mul_hi_u32 s19, s35, s22
	s_add_i32 s19, s19, s18
	s_mul_i32 s18, s35, s22
	s_lshl_b64 s[18:19], s[18:19], 3
	s_add_u32 s28, s20, s18
	s_addc_u32 s29, s21, s19
	s_and_b64 vcc, exec, s[10:11]
	s_cbranch_vccz .LBB10_84
; %bb.79:
	s_mov_b64 s[22:23], 0
	s_mov_b64 s[20:21], 0
                                        ; implicit-def: $vgpr0
                                        ; implicit-def: $vgpr4_vgpr5
	s_and_saveexec_b64 s[24:25], s[8:9]
	s_cbranch_execz .LBB10_83
; %bb.80:
	v_mad_u32_u24 v0, s33, v15, v3
	v_mov_b32_e32 v1, 0x800
	v_lshl_add_u32 v6, v0, 3, v1
	v_sub_u32_e32 v0, s33, v3
	v_mul_i32_i24_e32 v0, s33, v0
	v_lshlrev_b32_e32 v0, 3, v0
	v_lshlrev_b32_e32 v4, 3, v3
	v_sub_u32_e32 v0, v0, v4
	v_add_u32_e32 v7, 0xff8, v0
	s_lshl_b32 s20, s33, 3
	v_mov_b32_e32 v0, 0
	v_add_u32_e32 v5, -1, v3
	s_sub_i32 s26, 0, s20
	s_mov_b64 s[20:21], 0
	v_mov_b32_e32 v1, v0
.LBB10_81:                              ; =>This Inner Loop Header: Depth=1
	ds_read_b64 v[8:9], v7
	ds_read_b64 v[10:11], v6
	v_add_u32_e32 v5, 1, v5
	v_cmp_lt_u32_e32 vcc, 14, v5
	v_add_u32_e32 v6, 8, v6
	v_add_u32_e32 v7, s26, v7
	s_waitcnt lgkmcnt(0)
	v_pk_mul_f32 v[12:13], v[8:9], v[10:11] op_sel_hi:[0,1]
	v_pk_fma_f32 v[8:9], v[10:11], v[8:9], v[12:13] op_sel:[0,1,1] op_sel_hi:[1,1,0] neg_lo:[0,1,1] neg_hi:[0,0,1]
	s_or_b64 s[20:21], vcc, s[20:21]
	v_pk_add_f32 v[0:1], v[0:1], v[8:9]
	s_andn2_b64 exec, exec, s[20:21]
	s_cbranch_execnz .LBB10_81
; %bb.82:
	s_or_b64 exec, exec, s[20:21]
	s_mul_hi_i32 s27, s33, s12
	s_mul_i32 s26, s33, s12
	s_lshl_b64 s[26:27], s[26:27], 3
	s_add_u32 s26, s28, s26
	s_addc_u32 s27, s29, s27
	v_mad_i64_i32 v[6:7], s[30:31], v15, s12, 0
	v_mov_b32_e32 v5, s27
	v_add_co_u32_e32 v8, vcc, s26, v4
	v_addc_co_u32_e32 v9, vcc, 0, v5, vcc
	v_lshlrev_b64 v[4:5], 3, v[6:7]
	v_add_co_u32_e32 v4, vcc, v8, v4
	s_mov_b64 s[20:21], exec
	v_addc_co_u32_e32 v5, vcc, v9, v5, vcc
	global_store_dword v[4:5], v1, off
.LBB10_83:
	s_or_b64 exec, exec, s[24:25]
	s_and_b64 vcc, exec, s[22:23]
	s_cbranch_vccnz .LBB10_85
	s_branch .LBB10_96
.LBB10_84:
	s_mov_b64 s[20:21], 0
                                        ; implicit-def: $vgpr0
                                        ; implicit-def: $vgpr4_vgpr5
	s_cbranch_execz .LBB10_96
.LBB10_85:
                                        ; implicit-def: $vgpr0
                                        ; implicit-def: $vgpr4_vgpr5
	s_and_saveexec_b64 s[22:23], s[8:9]
	s_cbranch_execz .LBB10_95
; %bb.86:
	s_mov_b32 s8, 0
	s_mov_b32 s9, s8
	v_mul_u32_u24_e32 v5, s33, v15
	v_add_u32_e32 v17, 1, v3
	v_cmp_lt_u16_e32 vcc, 6, v3
	v_pk_mov_b32 v[0:1], s[8:9], s[8:9] op_sel:[0,1]
	v_mov_b32_e32 v16, 0
	s_and_saveexec_b64 s[24:25], vcc
	s_cbranch_execz .LBB10_90
; %bb.87:
	v_mov_b32_e32 v0, 0x800
	v_lshl_add_u32 v18, v5, 3, v0
	v_mov_b32_e32 v0, 0x1800
	v_lshl_add_u32 v4, v3, 3, v0
	v_mad_u64_u32 v[6:7], s[26:27], s33, 24, v[4:5]
	v_mad_u64_u32 v[8:9], s[26:27], s33, 40, v[4:5]
	;; [unrolled: 1-line block ×4, first 2 shown]
	v_mov_b32_e32 v0, 0
	v_and_b32_e32 v16, 56, v17
	v_lshl_add_u32 v19, s33, 3, v4
	s_lshl_b32 s9, s33, 6
	v_lshl_add_u32 v20, s33, 4, v4
	v_lshl_add_u32 v7, s33, 5, v4
	s_mov_b64 s[26:27], 0
	v_mov_b32_e32 v1, v0
.LBB10_88:                              ; =>This Inner Loop Header: Depth=1
	ds_read_b64 v[38:39], v4
	ds_read2_b64 v[22:25], v18 offset1:1
	ds_read2_b64 v[26:29], v18 offset0:2 offset1:3
	ds_read_b64 v[40:41], v19
	ds_read_b64 v[42:43], v20
	ds_read_b64 v[44:45], v7
	ds_read2_b64 v[30:33], v18 offset0:4 offset1:5
	ds_read2_b64 v[34:37], v18 offset0:6 offset1:7
	ds_read_b64 v[46:47], v6
	ds_read_b64 v[48:49], v8
	;; [unrolled: 1-line block ×4, first 2 shown]
	s_waitcnt lgkmcnt(10)
	v_pk_mul_f32 v[54:55], v[38:39], v[22:23] op_sel_hi:[0,1]
	s_waitcnt lgkmcnt(8)
	v_pk_mul_f32 v[56:57], v[40:41], v[24:25] op_sel_hi:[0,1]
	v_pk_fma_f32 v[22:23], v[22:23], v[38:39], v[54:55] op_sel:[0,1,1] op_sel_hi:[1,1,0] neg_lo:[0,1,1] neg_hi:[0,0,1]
	s_waitcnt lgkmcnt(7)
	v_pk_mul_f32 v[58:59], v[42:43], v[26:27] op_sel_hi:[0,1]
	v_pk_fma_f32 v[24:25], v[24:25], v[40:41], v[56:57] op_sel:[0,1,1] op_sel_hi:[1,1,0] neg_lo:[0,1,1] neg_hi:[0,0,1]
	v_pk_add_f32 v[0:1], v[0:1], v[22:23]
	s_waitcnt lgkmcnt(3)
	v_pk_mul_f32 v[60:61], v[46:47], v[28:29] op_sel_hi:[0,1]
	v_pk_fma_f32 v[26:27], v[26:27], v[42:43], v[58:59] op_sel:[0,1,1] op_sel_hi:[1,1,0] neg_lo:[0,1,1] neg_hi:[0,0,1]
	v_pk_add_f32 v[0:1], v[0:1], v[24:25]
	v_pk_mul_f32 v[62:63], v[44:45], v[30:31] op_sel_hi:[0,1]
	v_pk_fma_f32 v[28:29], v[28:29], v[46:47], v[60:61] op_sel:[0,1,1] op_sel_hi:[1,1,0] neg_lo:[0,1,1] neg_hi:[0,0,1]
	v_pk_add_f32 v[0:1], v[0:1], v[26:27]
	s_waitcnt lgkmcnt(2)
	v_pk_mul_f32 v[38:39], v[48:49], v[32:33] op_sel_hi:[0,1]
	v_pk_fma_f32 v[30:31], v[30:31], v[44:45], v[62:63] op_sel:[0,1,1] op_sel_hi:[1,1,0] neg_lo:[0,1,1] neg_hi:[0,0,1]
	v_pk_add_f32 v[0:1], v[0:1], v[28:29]
	s_waitcnt lgkmcnt(1)
	v_pk_mul_f32 v[40:41], v[50:51], v[34:35] op_sel_hi:[0,1]
	v_pk_fma_f32 v[32:33], v[32:33], v[48:49], v[38:39] op_sel:[0,1,1] op_sel_hi:[1,1,0] neg_lo:[0,1,1] neg_hi:[0,0,1]
	v_pk_add_f32 v[0:1], v[0:1], v[30:31]
	s_add_i32 s8, s8, 8
	s_waitcnt lgkmcnt(0)
	v_pk_mul_f32 v[54:55], v[52:53], v[36:37] op_sel_hi:[0,1]
	v_pk_fma_f32 v[34:35], v[34:35], v[50:51], v[40:41] op_sel:[0,1,1] op_sel_hi:[1,1,0] neg_lo:[0,1,1] neg_hi:[0,0,1]
	v_pk_add_f32 v[0:1], v[0:1], v[32:33]
	v_cmp_eq_u32_e32 vcc, s8, v16
	v_pk_fma_f32 v[36:37], v[36:37], v[52:53], v[54:55] op_sel:[0,1,1] op_sel_hi:[1,1,0] neg_lo:[0,1,1] neg_hi:[0,0,1]
	v_pk_add_f32 v[0:1], v[0:1], v[34:35]
	v_add_u32_e32 v18, 64, v18
	v_add_u32_e32 v19, s9, v19
	;; [unrolled: 1-line block ×9, first 2 shown]
	s_or_b64 s[26:27], vcc, s[26:27]
	v_pk_add_f32 v[0:1], v[0:1], v[36:37]
	s_andn2_b64 exec, exec, s[26:27]
	s_cbranch_execnz .LBB10_88
; %bb.89:
	s_or_b64 exec, exec, s[26:27]
.LBB10_90:
	s_or_b64 exec, exec, s[24:25]
	v_and_b32_e32 v4, 7, v17
	v_cmp_ne_u32_e32 vcc, 0, v4
	s_and_saveexec_b64 s[8:9], vcc
	s_cbranch_execz .LBB10_94
; %bb.91:
	v_add_u32_e32 v5, v5, v16
	v_mov_b32_e32 v6, 0x800
	v_lshl_add_u32 v5, v5, 3, v6
	v_mad_u32_u24 v6, v16, s33, v3
	v_mov_b32_e32 v7, 0x1800
	v_lshl_add_u32 v6, v6, 3, v7
	s_lshl_b32 s26, s33, 3
	s_mov_b64 s[24:25], 0
.LBB10_92:                              ; =>This Inner Loop Header: Depth=1
	ds_read_b64 v[8:9], v6
	ds_read_b64 v[10:11], v5
	v_add_u32_e32 v4, -1, v4
	v_cmp_eq_u32_e32 vcc, 0, v4
	v_add_u32_e32 v5, 8, v5
	v_add_u32_e32 v6, s26, v6
	s_waitcnt lgkmcnt(0)
	v_pk_mul_f32 v[12:13], v[8:9], v[10:11] op_sel_hi:[0,1]
	v_pk_fma_f32 v[8:9], v[10:11], v[8:9], v[12:13] op_sel:[0,1,1] op_sel_hi:[1,1,0] neg_lo:[0,1,1] neg_hi:[0,0,1]
	s_or_b64 s[24:25], vcc, s[24:25]
	v_pk_add_f32 v[0:1], v[0:1], v[8:9]
	s_andn2_b64 exec, exec, s[24:25]
	s_cbranch_execnz .LBB10_92
; %bb.93:
	s_or_b64 exec, exec, s[24:25]
.LBB10_94:
	s_or_b64 exec, exec, s[8:9]
	v_mad_i64_i32 v[4:5], s[8:9], v15, s12, 0
	v_lshlrev_b64 v[4:5], 3, v[4:5]
	v_mov_b32_e32 v6, s29
	v_add_co_u32_e32 v4, vcc, s28, v4
	v_addc_co_u32_e32 v5, vcc, v6, v5, vcc
	v_add_lshl_u32 v3, s33, v3, 3
	v_add_co_u32_e32 v4, vcc, v4, v3
	v_addc_co_u32_e32 v5, vcc, 0, v5, vcc
	s_or_b64 s[20:21], s[20:21], exec
	global_store_dword v[4:5], v1, off
.LBB10_95:
	s_or_b64 exec, exec, s[22:23]
.LBB10_96:
	s_and_saveexec_b64 s[8:9], s[20:21]
	s_cbranch_execnz .LBB10_98
; %bb.97:
	s_or_b64 exec, exec, s[8:9]
	s_and_saveexec_b64 s[8:9], s[2:3]
	s_cbranch_execnz .LBB10_99
	s_branch .LBB10_110
.LBB10_98:
	global_store_dword v[4:5], v0, off offset:4
	s_or_b64 exec, exec, s[8:9]
	s_and_saveexec_b64 s[8:9], s[2:3]
	s_cbranch_execz .LBB10_110
.LBB10_99:
	v_pk_mov_b32 v[0:1], 0, 0
	s_and_saveexec_b64 s[2:3], s[0:1]
	s_cbranch_execnz .LBB10_102
; %bb.100:
	s_or_b64 exec, exec, s[2:3]
	s_mov_b64 s[0:1], -1
	s_and_b64 vcc, exec, s[10:11]
	s_cbranch_vccnz .LBB10_103
.LBB10_101:
	s_andn2_b64 vcc, exec, s[0:1]
	s_cbranch_vccz .LBB10_107
	s_branch .LBB10_110
.LBB10_102:
	s_add_u32 s0, s12, 1
	s_addc_u32 s1, s13, 0
	s_mul_i32 s1, s1, s33
	s_mul_hi_u32 s8, s0, s33
	s_add_i32 s1, s8, s1
	s_mul_i32 s0, s0, s33
	v_pk_mov_b32 v[0:1], s[0:1], s[0:1] op_sel:[0,1]
	s_or_b64 exec, exec, s[2:3]
	s_mov_b64 s[0:1], -1
	s_and_b64 vcc, exec, s[10:11]
	s_cbranch_vccz .LBB10_101
.LBB10_103:
	v_cmp_gt_i32_e32 vcc, s33, v2
	s_and_saveexec_b64 s[0:1], vcc
	s_cbranch_execz .LBB10_106
; %bb.104:
	s_cmp_lt_u32 s34, 16
	s_cselect_b32 s3, s34, 16
	s_cselect_b32 s2, 0, 0
	s_add_u32 s8, s3, -1
	s_addc_u32 s2, s2, -1
	s_mul_i32 s3, s8, s13
	s_mul_hi_u32 s9, s8, s12
	s_add_i32 s3, s9, s3
	s_mul_i32 s2, s2, s12
	s_add_i32 s3, s3, s2
	s_mul_i32 s2, s8, s12
	s_lshl_b64 s[2:3], s[2:3], 3
	s_add_u32 s2, s2, s18
	s_addc_u32 s3, s3, s19
	s_add_u32 s2, s2, s6
	s_addc_u32 s3, s3, s7
	;; [unrolled: 2-line block ×3, first 2 shown]
	s_add_u32 s2, s4, s2
	v_xad_u32 v3, v2, -1, s33
	v_lshlrev_b64 v[4:5], 3, v[0:1]
	s_addc_u32 s3, s5, s3
	v_lshl_add_u32 v6, v3, 3, v14
	v_ashrrev_i32_e32 v3, 31, v2
	v_mov_b32_e32 v7, s3
	v_add_co_u32_e32 v8, vcc, s2, v4
	v_addc_co_u32_e32 v7, vcc, v7, v5, vcc
	v_lshlrev_b64 v[4:5], 3, v[2:3]
	v_add_co_u32_e32 v3, vcc, v8, v4
	s_lshl_b64 s[4:5], s[12:13], 3
	v_addc_co_u32_e32 v5, vcc, v7, v5, vcc
	s_sub_u32 s4, 0, s4
	v_mov_b32_e32 v7, s17
	v_add_co_u32_e32 v4, vcc, s16, v3
	s_subb_u32 s6, 0, s5
	v_addc_co_u32_e32 v5, vcc, v7, v5, vcc
	s_mov_b64 s[2:3], 0
	s_lshl_b32 s5, s33, 3
	v_mov_b32_e32 v3, s6
	s_mov_b32 s6, s33
.LBB10_105:                             ; =>This Inner Loop Header: Depth=1
	ds_read_b64 v[8:9], v6
	s_add_i32 s6, s6, -1
	v_cmp_le_i32_e32 vcc, s6, v2
	s_or_b64 s[2:3], vcc, s[2:3]
	v_add_u32_e32 v6, s5, v6
	s_waitcnt lgkmcnt(0)
	global_store_dwordx2 v[4:5], v[8:9], off
	v_add_co_u32_e32 v4, vcc, s4, v4
	v_addc_co_u32_e32 v5, vcc, v5, v3, vcc
	s_andn2_b64 exec, exec, s[2:3]
	s_cbranch_execnz .LBB10_105
.LBB10_106:
	s_or_b64 exec, exec, s[0:1]
	s_cbranch_execnz .LBB10_110
.LBB10_107:
	v_cmp_lt_i32_e32 vcc, -1, v2
	s_and_b64 exec, exec, vcc
	s_cbranch_execz .LBB10_110
; %bb.108:
	v_lshlrev_b64 v[0:1], 3, v[0:1]
	v_mov_b32_e32 v3, 0
	v_mov_b32_e32 v5, s29
	v_add_co_u32_e32 v6, vcc, s28, v0
	v_addc_co_u32_e32 v5, vcc, v5, v1, vcc
	v_lshlrev_b64 v[0:1], 3, v[2:3]
	v_add_co_u32_e32 v0, vcc, v6, v0
	s_lshl_b64 s[0:1], s[12:13], 3
	v_lshl_add_u32 v4, v2, 3, v14
	v_addc_co_u32_e32 v1, vcc, v5, v1, vcc
	v_add_u32_e32 v2, 1, v2
	s_lshl_b32 s4, s33, 3
	s_mov_b64 s[2:3], 0
	v_mov_b32_e32 v3, s1
.LBB10_109:                             ; =>This Inner Loop Header: Depth=1
	ds_read_b64 v[6:7], v4
	v_add_u32_e32 v2, -1, v2
	v_cmp_eq_u32_e32 vcc, 0, v2
	s_or_b64 s[2:3], vcc, s[2:3]
	v_add_u32_e32 v4, s4, v4
	s_waitcnt lgkmcnt(0)
	global_store_dwordx2 v[0:1], v[6:7], off
	v_add_co_u32_e32 v0, vcc, s0, v0
	v_addc_co_u32_e32 v1, vcc, v1, v3, vcc
	s_andn2_b64 exec, exec, s[2:3]
	s_cbranch_execnz .LBB10_109
.LBB10_110:
	s_endpgm
	.section	.rodata,"a",@progbits
	.p2align	6, 0x0
	.amdhsa_kernel _ZL29rocblas_trtri_diagonal_kernelILi16E19rocblas_complex_numIfEPKS1_PS1_Ev13rocblas_fill_17rocblas_diagonal_iT1_lillT2_lilli
		.amdhsa_group_segment_fixed_size 8192
		.amdhsa_private_segment_fixed_size 0
		.amdhsa_kernarg_size 100
		.amdhsa_user_sgpr_count 6
		.amdhsa_user_sgpr_private_segment_buffer 1
		.amdhsa_user_sgpr_dispatch_ptr 0
		.amdhsa_user_sgpr_queue_ptr 0
		.amdhsa_user_sgpr_kernarg_segment_ptr 1
		.amdhsa_user_sgpr_dispatch_id 0
		.amdhsa_user_sgpr_flat_scratch_init 0
		.amdhsa_user_sgpr_kernarg_preload_length 0
		.amdhsa_user_sgpr_kernarg_preload_offset 0
		.amdhsa_user_sgpr_private_segment_size 0
		.amdhsa_uses_dynamic_stack 0
		.amdhsa_system_sgpr_private_segment_wavefront_offset 0
		.amdhsa_system_sgpr_workgroup_id_x 1
		.amdhsa_system_sgpr_workgroup_id_y 0
		.amdhsa_system_sgpr_workgroup_id_z 1
		.amdhsa_system_sgpr_workgroup_info 0
		.amdhsa_system_vgpr_workitem_id 0
		.amdhsa_next_free_vgpr 64
		.amdhsa_next_free_sgpr 44
		.amdhsa_accum_offset 64
		.amdhsa_reserve_vcc 1
		.amdhsa_reserve_flat_scratch 0
		.amdhsa_float_round_mode_32 0
		.amdhsa_float_round_mode_16_64 0
		.amdhsa_float_denorm_mode_32 3
		.amdhsa_float_denorm_mode_16_64 3
		.amdhsa_dx10_clamp 1
		.amdhsa_ieee_mode 1
		.amdhsa_fp16_overflow 0
		.amdhsa_tg_split 0
		.amdhsa_exception_fp_ieee_invalid_op 0
		.amdhsa_exception_fp_denorm_src 0
		.amdhsa_exception_fp_ieee_div_zero 0
		.amdhsa_exception_fp_ieee_overflow 0
		.amdhsa_exception_fp_ieee_underflow 0
		.amdhsa_exception_fp_ieee_inexact 0
		.amdhsa_exception_int_div_zero 0
	.end_amdhsa_kernel
	.section	.text._ZL29rocblas_trtri_diagonal_kernelILi16E19rocblas_complex_numIfEPKS1_PS1_Ev13rocblas_fill_17rocblas_diagonal_iT1_lillT2_lilli,"axG",@progbits,_ZL29rocblas_trtri_diagonal_kernelILi16E19rocblas_complex_numIfEPKS1_PS1_Ev13rocblas_fill_17rocblas_diagonal_iT1_lillT2_lilli,comdat
.Lfunc_end10:
	.size	_ZL29rocblas_trtri_diagonal_kernelILi16E19rocblas_complex_numIfEPKS1_PS1_Ev13rocblas_fill_17rocblas_diagonal_iT1_lillT2_lilli, .Lfunc_end10-_ZL29rocblas_trtri_diagonal_kernelILi16E19rocblas_complex_numIfEPKS1_PS1_Ev13rocblas_fill_17rocblas_diagonal_iT1_lillT2_lilli
                                        ; -- End function
	.section	.AMDGPU.csdata,"",@progbits
; Kernel info:
; codeLenInByte = 4796
; NumSgprs: 48
; NumVgprs: 64
; NumAgprs: 0
; TotalNumVgprs: 64
; ScratchSize: 0
; MemoryBound: 0
; FloatMode: 240
; IeeeMode: 1
; LDSByteSize: 8192 bytes/workgroup (compile time only)
; SGPRBlocks: 5
; VGPRBlocks: 7
; NumSGPRsForWavesPerEU: 48
; NumVGPRsForWavesPerEU: 64
; AccumOffset: 64
; Occupancy: 8
; WaveLimiterHint : 0
; COMPUTE_PGM_RSRC2:SCRATCH_EN: 0
; COMPUTE_PGM_RSRC2:USER_SGPR: 6
; COMPUTE_PGM_RSRC2:TRAP_HANDLER: 0
; COMPUTE_PGM_RSRC2:TGID_X_EN: 1
; COMPUTE_PGM_RSRC2:TGID_Y_EN: 0
; COMPUTE_PGM_RSRC2:TGID_Z_EN: 1
; COMPUTE_PGM_RSRC2:TIDIG_COMP_CNT: 0
; COMPUTE_PGM_RSRC3_GFX90A:ACCUM_OFFSET: 15
; COMPUTE_PGM_RSRC3_GFX90A:TG_SPLIT: 0
	.section	.text._ZL30rocblas_trtri_remainder_kernelILi16E19rocblas_complex_numIfEPKS1_PS1_Ev13rocblas_fill_17rocblas_diagonal_iT1_lillT2_lilli,"axG",@progbits,_ZL30rocblas_trtri_remainder_kernelILi16E19rocblas_complex_numIfEPKS1_PS1_Ev13rocblas_fill_17rocblas_diagonal_iT1_lillT2_lilli,comdat
	.globl	_ZL30rocblas_trtri_remainder_kernelILi16E19rocblas_complex_numIfEPKS1_PS1_Ev13rocblas_fill_17rocblas_diagonal_iT1_lillT2_lilli ; -- Begin function _ZL30rocblas_trtri_remainder_kernelILi16E19rocblas_complex_numIfEPKS1_PS1_Ev13rocblas_fill_17rocblas_diagonal_iT1_lillT2_lilli
	.p2align	8
	.type	_ZL30rocblas_trtri_remainder_kernelILi16E19rocblas_complex_numIfEPKS1_PS1_Ev13rocblas_fill_17rocblas_diagonal_iT1_lillT2_lilli,@function
_ZL30rocblas_trtri_remainder_kernelILi16E19rocblas_complex_numIfEPKS1_PS1_Ev13rocblas_fill_17rocblas_diagonal_iT1_lillT2_lilli: ; @_ZL30rocblas_trtri_remainder_kernelILi16E19rocblas_complex_numIfEPKS1_PS1_Ev13rocblas_fill_17rocblas_diagonal_iT1_lillT2_lilli
; %bb.0:
	s_load_dwordx4 s[16:19], s[4:5], 0x0
	s_waitcnt lgkmcnt(0)
	s_cmp_lt_i32 s18, 1
	s_cbranch_scc1 .LBB11_53
; %bb.1:
	s_load_dwordx8 s[8:15], s[4:5], 0x28
	v_cmp_le_u32_e64 s[2:3], s18, v0
	v_cmp_gt_u32_e64 s[0:1], s18, v0
	s_and_saveexec_b64 s[24:25], s[0:1]
	s_cbranch_execz .LBB11_14
; %bb.2:
	s_load_dwordx4 s[20:23], s[4:5], 0x10
	s_load_dword s26, s[4:5], 0x20
	s_waitcnt lgkmcnt(0)
	s_mul_i32 s9, s7, s9
	s_mul_hi_u32 s19, s7, s8
	s_add_i32 s9, s19, s9
	s_mul_i32 s11, s6, s11
	s_mul_hi_u32 s19, s6, s10
	s_add_i32 s11, s19, s11
	s_mul_i32 s8, s7, s8
	s_mul_i32 s10, s6, s10
	s_cmpk_lg_i32 s16, 0x7a
	s_mov_b64 s[28:29], -1
	s_cbranch_scc0 .LBB11_6
; %bb.3:
	s_ashr_i32 s27, s26, 31
	s_lshl_b32 s19, s18, 3
	s_ashr_i32 s28, s18, 31
	s_add_u32 s30, s18, -1
	s_addc_u32 s28, s28, -1
	s_mul_i32 s29, s30, s27
	s_mul_hi_u32 s31, s30, s26
	s_add_i32 s29, s31, s29
	s_mul_i32 s28, s28, s26
	s_add_i32 s29, s29, s28
	s_mul_i32 s28, s30, s26
	s_lshl_b64 s[28:29], s[28:29], 3
	s_lshl_b64 s[30:31], s[10:11], 3
	s_add_u32 s30, s28, s30
	s_addc_u32 s31, s29, s31
	s_lshl_b64 s[28:29], s[8:9], 3
	s_add_u32 s30, s30, s28
	s_addc_u32 s31, s31, s29
	;; [unrolled: 3-line block ×3, first 2 shown]
	s_add_u32 s28, s20, s28
	s_addc_u32 s29, s21, s29
	s_lshl_b64 s[30:31], s[26:27], 3
	v_lshlrev_b32_e32 v2, 3, v0
	s_sub_u32 s27, 0, s30
	v_sub_u32_e32 v1, s19, v2
	v_mov_b32_e32 v3, s29
	v_add_co_u32_e32 v2, vcc, s28, v2
	s_subb_u32 s30, 0, s31
	v_add_u32_e32 v1, -8, v1
	v_addc_co_u32_e32 v3, vcc, 0, v3, vcc
	s_mov_b64 s[28:29], 0
	v_mov_b32_e32 v4, s30
	s_mov_b32 s30, s18
.LBB11_4:                               ; =>This Inner Loop Header: Depth=1
	global_load_dwordx2 v[6:7], v[2:3], off
	v_add_co_u32_e32 v2, vcc, s27, v2
	s_add_i32 s30, s30, -1
	v_addc_co_u32_e32 v3, vcc, v3, v4, vcc
	v_cmp_le_i32_e32 vcc, s30, v0
	s_or_b64 s[28:29], vcc, s[28:29]
	s_waitcnt vmcnt(0)
	ds_write_b64 v1, v[6:7]
	v_add_u32_e32 v1, s19, v1
	s_andn2_b64 exec, exec, s[28:29]
	s_cbranch_execnz .LBB11_4
; %bb.5:
	s_or_b64 exec, exec, s[28:29]
	s_mov_b64 s[28:29], 0
.LBB11_6:
	s_and_b64 vcc, exec, s[28:29]
	s_cbranch_vccz .LBB11_14
; %bb.7:
	v_mov_b32_e32 v1, 0
	s_ashr_i32 s27, s26, 31
	v_add_u32_e32 v4, 1, v0
	v_cmp_lt_u32_e32 vcc, 2, v0
	s_and_saveexec_b64 s[28:29], vcc
	s_cbranch_execz .LBB11_11
; %bb.8:
	s_lshl_b64 s[30:31], s[8:9], 3
	s_add_u32 s19, s20, s30
	s_addc_u32 s33, s21, s31
	s_lshl_b64 s[30:31], s[22:23], 3
	s_add_u32 s19, s19, s30
	s_addc_u32 s33, s33, s31
	;; [unrolled: 3-line block ×3, first 2 shown]
	v_lshlrev_b32_e32 v5, 3, v0
	v_mov_b32_e32 v1, s30
	v_add_co_u32_e32 v2, vcc, s19, v5
	s_mul_hi_i32 s44, s26, 24
	s_lshl_b64 s[30:31], s[26:27], 5
	s_lshl_b64 s[34:35], s[26:27], 4
	;; [unrolled: 1-line block ×3, first 2 shown]
	v_addc_co_u32_e32 v3, vcc, 0, v1, vcc
	v_and_b32_e32 v1, 0x7fc, v4
	s_mul_i32 s19, s26, 24
	s_lshl_b32 s33, s18, 3
	s_lshl_b32 s40, s18, 5
	;; [unrolled: 1-line block ×3, first 2 shown]
	s_mul_i32 s42, s18, 24
	s_mov_b32 s43, 0
	s_mov_b64 s[38:39], 0
	v_mov_b32_e32 v6, s37
	v_mov_b32_e32 v7, s35
	;; [unrolled: 1-line block ×4, first 2 shown]
.LBB11_9:                               ; =>This Inner Loop Header: Depth=1
	v_add_co_u32_e32 v12, vcc, s36, v2
	v_addc_co_u32_e32 v13, vcc, v3, v6, vcc
	v_add_co_u32_e32 v14, vcc, s34, v2
	v_addc_co_u32_e32 v15, vcc, v3, v7, vcc
	global_load_dwordx2 v[10:11], v[2:3], off
	v_add_co_u32_e32 v16, vcc, s19, v2
	v_addc_co_u32_e32 v17, vcc, v3, v8, vcc
	global_load_dwordx2 v[18:19], v[12:13], off
	global_load_dwordx2 v[20:21], v[14:15], off
	;; [unrolled: 1-line block ×3, first 2 shown]
	v_add_co_u32_e32 v2, vcc, s30, v2
	s_add_i32 s43, s43, 4
	v_addc_co_u32_e32 v3, vcc, v3, v9, vcc
	v_cmp_eq_u32_e32 vcc, s43, v1
	v_add_u32_e32 v12, s33, v5
	v_add_u32_e32 v13, s41, v5
	;; [unrolled: 1-line block ×3, first 2 shown]
	s_or_b64 s[38:39], vcc, s[38:39]
	s_waitcnt vmcnt(3)
	ds_write_b64 v5, v[10:11]
	v_add_u32_e32 v5, s40, v5
	s_waitcnt vmcnt(2)
	ds_write_b64 v12, v[18:19]
	s_waitcnt vmcnt(1)
	ds_write_b64 v13, v[20:21]
	;; [unrolled: 2-line block ×3, first 2 shown]
	s_andn2_b64 exec, exec, s[38:39]
	s_cbranch_execnz .LBB11_9
; %bb.10:
	s_or_b64 exec, exec, s[38:39]
.LBB11_11:
	s_or_b64 exec, exec, s[28:29]
	v_and_b32_e32 v4, 3, v4
	v_cmp_ne_u32_e32 vcc, 0, v4
	s_and_b64 exec, exec, vcc
	s_cbranch_execz .LBB11_14
; %bb.12:
	s_lshl_b32 s19, s18, 3
	s_lshl_b64 s[10:11], s[10:11], 3
	s_lshl_b64 s[8:9], s[8:9], 3
	v_mul_lo_u32 v2, v1, s18
	s_add_u32 s10, s10, s8
	v_add_lshl_u32 v5, v0, v2, 3
	s_addc_u32 s11, s11, s9
	v_mad_i64_i32 v[2:3], s[8:9], s26, v1, 0
	s_lshl_b64 s[8:9], s[22:23], 3
	s_add_u32 s8, s8, s10
	v_lshlrev_b64 v[2:3], 3, v[2:3]
	s_addc_u32 s9, s9, s11
	v_mov_b32_e32 v1, s9
	v_add_co_u32_e32 v2, vcc, s8, v2
	v_addc_co_u32_e32 v1, vcc, v1, v3, vcc
	v_lshlrev_b32_e32 v3, 3, v0
	v_add_co_u32_e32 v2, vcc, v2, v3
	v_addc_co_u32_e32 v1, vcc, 0, v1, vcc
	v_mov_b32_e32 v3, s21
	v_add_co_u32_e32 v2, vcc, s20, v2
	s_lshl_b64 s[8:9], s[26:27], 3
	v_addc_co_u32_e32 v3, vcc, v3, v1, vcc
	s_mov_b64 s[10:11], 0
	v_mov_b32_e32 v1, s9
.LBB11_13:                              ; =>This Inner Loop Header: Depth=1
	global_load_dwordx2 v[6:7], v[2:3], off
	v_add_co_u32_e32 v2, vcc, s8, v2
	v_addc_co_u32_e32 v3, vcc, v3, v1, vcc
	v_add_u32_e32 v4, -1, v4
	v_cmp_eq_u32_e32 vcc, 0, v4
	s_or_b64 s[10:11], vcc, s[10:11]
	s_waitcnt vmcnt(0)
	ds_write_b64 v5, v[6:7]
	v_add_u32_e32 v5, s19, v5
	s_andn2_b64 exec, exec, s[10:11]
	s_cbranch_execnz .LBB11_13
.LBB11_14:
	s_or_b64 exec, exec, s[24:25]
	s_waitcnt lgkmcnt(0)
	s_barrier
	s_waitcnt lgkmcnt(0)
                                        ; implicit-def: $vgpr2
	s_and_saveexec_b64 s[8:9], s[2:3]
	s_xor_b64 s[2:3], exec, s[8:9]
; %bb.15:
	v_mad_u64_u32 v[2:3], s[8:9], v0, s18, v[0:1]
; %bb.16:
	s_andn2_saveexec_b64 s[8:9], s[2:3]
	s_cbranch_execz .LBB11_29
; %bb.17:
	v_mad_u64_u32 v[2:3], s[2:3], v0, s18, v[0:1]
	s_cmpk_lg_i32 s17, 0x84
	v_lshlrev_b32_e32 v1, 3, v2
	s_cbranch_scc0 .LBB11_27
; %bb.18:
	ds_read_b64 v[4:5], v1
	s_waitcnt lgkmcnt(0)
	v_cmp_neq_f32_e32 vcc, 0, v4
	v_cmp_neq_f32_e64 s[2:3], 0, v5
	s_or_b64 s[2:3], vcc, s[2:3]
	s_and_saveexec_b64 s[10:11], s[2:3]
	s_xor_b64 s[2:3], exec, s[10:11]
	s_cbranch_execz .LBB11_24
; %bb.19:
	v_cmp_gt_f32_e32 vcc, 0, v5
	v_cndmask_b32_e64 v3, v5, -v5, vcc
	v_cmp_gt_f32_e32 vcc, 0, v4
	v_cndmask_b32_e64 v6, v4, -v4, vcc
	v_cmp_ngt_f32_e32 vcc, v6, v3
                                        ; implicit-def: $vgpr6_vgpr7
	s_and_saveexec_b64 s[10:11], vcc
	s_xor_b64 s[10:11], exec, s[10:11]
	s_cbranch_execz .LBB11_21
; %bb.20:
	v_div_scale_f32 v3, s[20:21], v5, v5, v4
	v_rcp_f32_e32 v6, v3
	v_div_scale_f32 v7, vcc, v4, v5, v4
	v_fma_f32 v8, -v3, v6, 1.0
	v_fmac_f32_e32 v6, v8, v6
	v_mul_f32_e32 v8, v7, v6
	v_fma_f32 v9, -v3, v8, v7
	v_fmac_f32_e32 v8, v9, v6
	v_fma_f32 v3, -v3, v8, v7
	v_div_fmas_f32 v3, v3, v6, v8
	v_div_fixup_f32 v3, v3, v5, v4
	v_fmac_f32_e32 v5, v4, v3
	v_div_scale_f32 v4, s[20:21], v5, v5, 1.0
	v_rcp_f32_e32 v6, v4
	v_fma_f32 v7, -v4, v6, 1.0
	v_fmac_f32_e32 v6, v7, v6
	v_div_scale_f32 v7, vcc, 1.0, v5, 1.0
	v_mul_f32_e32 v8, v7, v6
	v_fma_f32 v9, -v4, v8, v7
	v_fmac_f32_e32 v8, v9, v6
	v_fma_f32 v4, -v4, v8, v7
	v_div_fmas_f32 v4, v4, v6, v8
	v_div_fixup_f32 v4, v4, v5, 1.0
	v_mul_f32_e32 v6, v3, v4
	v_xor_b32_e32 v7, 0x80000000, v4
                                        ; implicit-def: $vgpr4_vgpr5
.LBB11_21:
	s_andn2_saveexec_b64 s[10:11], s[10:11]
	s_cbranch_execz .LBB11_23
; %bb.22:
	v_div_scale_f32 v3, s[20:21], v4, v4, v5
	v_rcp_f32_e32 v6, v3
	v_div_scale_f32 v7, vcc, v5, v4, v5
	v_fma_f32 v8, -v3, v6, 1.0
	v_fmac_f32_e32 v6, v8, v6
	v_mul_f32_e32 v8, v7, v6
	v_fma_f32 v9, -v3, v8, v7
	v_fmac_f32_e32 v8, v9, v6
	v_fma_f32 v3, -v3, v8, v7
	v_div_fmas_f32 v3, v3, v6, v8
	v_div_fixup_f32 v3, v3, v4, v5
	v_fmac_f32_e32 v4, v5, v3
	v_div_scale_f32 v5, s[20:21], v4, v4, 1.0
	v_rcp_f32_e32 v6, v5
	v_fma_f32 v7, -v5, v6, 1.0
	v_fmac_f32_e32 v6, v7, v6
	v_div_scale_f32 v7, vcc, 1.0, v4, 1.0
	v_mul_f32_e32 v8, v7, v6
	v_fma_f32 v9, -v5, v8, v7
	v_fmac_f32_e32 v8, v9, v6
	v_fma_f32 v5, -v5, v8, v7
	v_div_fmas_f32 v5, v5, v6, v8
	v_div_fixup_f32 v6, v5, v4, 1.0
	v_mul_f32_e64 v7, v3, -v6
.LBB11_23:
	s_or_b64 exec, exec, s[10:11]
	ds_write_b64 v1, v[6:7]
.LBB11_24:
	s_andn2_saveexec_b64 s[2:3], s[2:3]
	s_cbranch_execz .LBB11_26
; %bb.25:
	v_mov_b32_e32 v4, 1.0
	v_mov_b32_e32 v5, 0
	ds_write_b64 v1, v[4:5]
.LBB11_26:
	s_or_b64 exec, exec, s[2:3]
	s_cbranch_execz .LBB11_28
	s_branch .LBB11_29
.LBB11_27:
.LBB11_28:
	v_mov_b32_e32 v4, 1.0
	v_mov_b32_e32 v5, 0
	ds_write_b64 v1, v[4:5]
.LBB11_29:
	s_or_b64 exec, exec, s[8:9]
	s_lshl_b32 s19, s18, 3
	v_lshlrev_b32_e32 v1, 3, v2
	s_mov_b32 s8, 8
	s_add_i32 s9, s19, 8
	v_add_lshl_u32 v2, v0, s18, 3
	s_mov_b32 s10, 0
	s_waitcnt lgkmcnt(0)
	s_barrier
	s_branch .LBB11_31
.LBB11_30:                              ;   in Loop: Header=BB11_31 Depth=1
	s_add_i32 s8, s8, s9
	s_cmp_eq_u32 s10, s18
	v_add_u32_e32 v2, s19, v2
	s_barrier
	s_cbranch_scc1 .LBB11_40
.LBB11_31:                              ; =>This Loop Header: Depth=1
                                        ;     Child Loop BB11_36 Depth 2
	s_mul_i32 s11, s10, s18
	v_cmp_lt_u32_e32 vcc, s10, v0
	v_mov_b32_e32 v4, 0
	v_add_lshl_u32 v3, s11, v0, 3
	v_mov_b32_e32 v5, 0
	s_and_saveexec_b64 s[2:3], vcc
	s_cbranch_execz .LBB11_33
; %bb.32:                               ;   in Loop: Header=BB11_31 Depth=1
	s_add_i32 s11, s11, s10
	s_lshl_b32 s11, s11, 3
	v_mov_b32_e32 v6, s11
	ds_read_b64 v[4:5], v3
	ds_read_b64 v[6:7], v6
	s_waitcnt lgkmcnt(0)
	v_mul_f32_e32 v8, v7, v5
	v_mul_f32_e32 v5, v6, v5
	v_fma_f32 v6, v6, v4, -v8
	v_fmac_f32_e32 v5, v7, v4
	v_add_f32_e32 v4, 0, v6
	v_add_f32_e32 v5, 0, v5
.LBB11_33:                              ;   in Loop: Header=BB11_31 Depth=1
	s_or_b64 exec, exec, s[2:3]
	s_add_i32 s10, s10, 1
	s_cmp_ge_i32 s10, s18
	s_barrier
	s_cbranch_scc1 .LBB11_30
; %bb.34:                               ;   in Loop: Header=BB11_31 Depth=1
	v_mov_b32_e32 v6, v2
	s_mov_b32 s11, s8
	s_mov_b32 s17, s10
	s_branch .LBB11_36
.LBB11_35:                              ;   in Loop: Header=BB11_36 Depth=2
	s_or_b64 exec, exec, s[2:3]
	s_add_i32 s17, s17, 1
	s_add_i32 s11, s11, 8
	s_cmp_ge_i32 s17, s18
	v_add_u32_e32 v6, s19, v6
	s_barrier
	s_cbranch_scc1 .LBB11_30
.LBB11_36:                              ;   Parent Loop BB11_31 Depth=1
                                        ; =>  This Inner Loop Header: Depth=2
	v_cmp_eq_u32_e32 vcc, s17, v0
	s_and_saveexec_b64 s[2:3], vcc
	s_cbranch_execz .LBB11_38
; %bb.37:                               ;   in Loop: Header=BB11_36 Depth=2
	ds_read_b64 v[8:9], v1
	v_sub_f32_e32 v7, 0, v4
	s_waitcnt lgkmcnt(0)
	v_mul_f32_e32 v10, v5, v9
	v_mul_f32_e32 v11, v5, v8
	v_fmac_f32_e32 v10, v7, v8
	v_fma_f32 v11, -v4, v9, -v11
	ds_write_b64 v3, v[10:11]
.LBB11_38:                              ;   in Loop: Header=BB11_36 Depth=2
	s_or_b64 exec, exec, s[2:3]
	v_cmp_lt_u32_e32 vcc, s17, v0
	s_waitcnt lgkmcnt(0)
	s_barrier
	s_and_saveexec_b64 s[2:3], vcc
	s_cbranch_execz .LBB11_35
; %bb.39:                               ;   in Loop: Header=BB11_36 Depth=2
	v_mov_b32_e32 v7, s11
	ds_read_b64 v[8:9], v6
	ds_read_b64 v[10:11], v7
	s_waitcnt lgkmcnt(0)
	v_mul_f32_e32 v7, v11, v9
	v_mul_f32_e32 v9, v10, v9
	v_fma_f32 v7, v10, v8, -v7
	v_fmac_f32_e32 v9, v11, v8
	v_add_f32_e32 v4, v4, v7
	v_add_f32_e32 v5, v5, v9
	s_branch .LBB11_35
.LBB11_40:
	s_and_saveexec_b64 s[2:3], s[0:1]
	s_cbranch_execz .LBB11_53
; %bb.41:
	s_load_dwordx4 s[8:11], s[4:5], 0x50
	s_load_dword s0, s[4:5], 0x48
	v_lshlrev_b32_e32 v1, 3, v0
	s_waitcnt lgkmcnt(0)
	s_mul_i32 s1, s7, s9
	s_mul_hi_u32 s3, s7, s8
	s_mul_i32 s4, s6, s11
	s_add_i32 s3, s3, s1
	s_mul_hi_u32 s1, s6, s10
	s_add_i32 s5, s1, s4
	s_mul_i32 s2, s7, s8
	s_mul_i32 s4, s6, s10
	s_mov_b64 s[6:7], -1
	s_cmpk_lg_i32 s16, 0x7a
	s_cbranch_scc0 .LBB11_45
; %bb.42:
	s_add_i32 s10, s18, -1
	s_ashr_i32 s1, s0, 31
	s_lshl_b64 s[6:7], s[4:5], 3
	s_lshl_b64 s[8:9], s[2:3], 3
	s_add_u32 s8, s6, s8
	s_addc_u32 s9, s7, s9
	s_mul_i32 s6, s1, s10
	s_mul_hi_u32 s7, s0, s10
	s_add_i32 s7, s7, s6
	s_mul_i32 s6, s0, s10
	s_lshl_b64 s[6:7], s[6:7], 3
	s_add_u32 s8, s8, s6
	s_addc_u32 s9, s9, s7
	s_lshl_b64 s[6:7], s[14:15], 3
	s_add_u32 s6, s8, s6
	s_addc_u32 s7, s9, s7
	s_add_u32 s6, s12, s6
	s_addc_u32 s7, s13, s7
	s_lshl_b64 s[8:9], s[0:1], 3
	v_lshlrev_b32_e32 v4, 3, v0
	s_sub_u32 s1, 0, s8
	v_mov_b32_e32 v3, s7
	v_add_co_u32_e32 v2, vcc, s6, v4
	s_subb_u32 s8, 0, s9
	v_sub_u32_e32 v4, s19, v4
	v_addc_co_u32_e32 v3, vcc, 0, v3, vcc
	s_mov_b64 s[6:7], 0
	v_add_u32_e32 v4, -8, v4
	v_mov_b32_e32 v5, s8
	s_mov_b32 s8, s18
.LBB11_43:                              ; =>This Inner Loop Header: Depth=1
	ds_read_b64 v[6:7], v4
	s_add_i32 s8, s8, -1
	v_cmp_le_i32_e32 vcc, s8, v0
	s_or_b64 s[6:7], vcc, s[6:7]
	v_add_u32_e32 v4, s19, v4
	s_waitcnt lgkmcnt(0)
	global_store_dwordx2 v[2:3], v[6:7], off
	v_add_co_u32_e32 v2, vcc, s1, v2
	v_addc_co_u32_e32 v3, vcc, v3, v5, vcc
	s_andn2_b64 exec, exec, s[6:7]
	s_cbranch_execnz .LBB11_43
; %bb.44:
	s_or_b64 exec, exec, s[6:7]
	s_mov_b64 s[6:7], 0
.LBB11_45:
	s_and_b64 vcc, exec, s[6:7]
	s_cbranch_vccz .LBB11_53
; %bb.46:
	v_mov_b32_e32 v4, 0
	s_ashr_i32 s1, s0, 31
	v_add_u32_e32 v5, 1, v0
	v_cmp_lt_u32_e32 vcc, 2, v0
	s_and_saveexec_b64 s[6:7], vcc
	s_cbranch_execz .LBB11_50
; %bb.47:
	s_lshl_b64 s[8:9], s[2:3], 3
	s_add_u32 s10, s12, s8
	s_addc_u32 s11, s13, s9
	s_lshl_b64 s[8:9], s[14:15], 3
	s_add_u32 s10, s10, s8
	s_addc_u32 s11, s11, s9
	;; [unrolled: 3-line block ×3, first 2 shown]
	v_mov_b32_e32 v3, s9
	v_add_co_u32_e32 v2, vcc, s8, v1
	s_mul_hi_i32 s27, s0, 24
	s_lshl_b64 s[8:9], s[0:1], 5
	s_lshl_b64 s[10:11], s[0:1], 4
	;; [unrolled: 1-line block ×3, first 2 shown]
	v_addc_co_u32_e32 v3, vcc, 0, v3, vcc
	v_and_b32_e32 v4, 0x7fc, v5
	s_mul_i32 s22, s0, 24
	s_lshl_b32 s23, s18, 5
	s_lshl_b32 s24, s18, 4
	s_mul_i32 s25, s18, 24
	s_mov_b32 s26, 0
	s_mov_b64 s[20:21], 0
	v_mov_b32_e32 v6, s17
	v_mov_b32_e32 v7, s11
	;; [unrolled: 1-line block ×5, first 2 shown]
.LBB11_48:                              ; =>This Inner Loop Header: Depth=1
	v_add_co_u32_e32 v14, vcc, s16, v2
	v_addc_co_u32_e32 v15, vcc, v3, v6, vcc
	ds_read_b64 v[12:13], v10
	v_add_co_u32_e32 v16, vcc, s10, v2
	v_add_u32_e32 v11, s19, v10
	v_add_u32_e32 v22, s24, v10
	v_addc_co_u32_e32 v17, vcc, v3, v7, vcc
	v_add_u32_e32 v24, s25, v10
	v_add_co_u32_e32 v18, vcc, s22, v2
	ds_read_b64 v[20:21], v11
	ds_read_b64 v[22:23], v22
	;; [unrolled: 1-line block ×3, first 2 shown]
	v_addc_co_u32_e32 v19, vcc, v3, v8, vcc
	s_add_i32 s26, s26, 4
	v_cmp_eq_u32_e32 vcc, s26, v4
	s_or_b64 s[20:21], vcc, s[20:21]
	s_waitcnt lgkmcnt(3)
	global_store_dwordx2 v[2:3], v[12:13], off
	v_add_co_u32_e32 v2, vcc, s8, v2
	v_add_u32_e32 v10, s23, v10
	v_addc_co_u32_e32 v3, vcc, v3, v9, vcc
	s_waitcnt lgkmcnt(2)
	global_store_dwordx2 v[14:15], v[20:21], off
	s_waitcnt lgkmcnt(1)
	global_store_dwordx2 v[16:17], v[22:23], off
	;; [unrolled: 2-line block ×3, first 2 shown]
	s_andn2_b64 exec, exec, s[20:21]
	s_cbranch_execnz .LBB11_48
; %bb.49:
	s_or_b64 exec, exec, s[20:21]
.LBB11_50:
	s_or_b64 exec, exec, s[6:7]
	v_and_b32_e32 v5, 3, v5
	v_cmp_ne_u32_e32 vcc, 0, v5
	s_and_b64 exec, exec, vcc
	s_cbranch_execz .LBB11_53
; %bb.51:
	s_lshl_b64 s[4:5], s[4:5], 3
	s_lshl_b64 s[2:3], s[2:3], 3
	s_add_u32 s4, s4, s2
	s_addc_u32 s5, s5, s3
	v_mad_i64_i32 v[2:3], s[2:3], s0, v4, 0
	s_lshl_b64 s[2:3], s[14:15], 3
	s_add_u32 s2, s2, s4
	v_lshlrev_b64 v[2:3], 3, v[2:3]
	s_addc_u32 s3, s3, s5
	v_mov_b32_e32 v6, s3
	v_add_co_u32_e32 v2, vcc, s2, v2
	v_addc_co_u32_e32 v3, vcc, v6, v3, vcc
	v_add_co_u32_e32 v1, vcc, v2, v1
	v_addc_co_u32_e32 v3, vcc, 0, v3, vcc
	v_mov_b32_e32 v6, s13
	v_add_co_u32_e32 v2, vcc, s12, v1
	s_lshl_b64 s[0:1], s[0:1], 3
	v_mul_lo_u32 v1, v4, s18
	v_addc_co_u32_e32 v3, vcc, v6, v3, vcc
	v_add_lshl_u32 v0, v0, v1, 3
	s_mov_b64 s[2:3], 0
	v_mov_b32_e32 v1, s1
.LBB11_52:                              ; =>This Inner Loop Header: Depth=1
	ds_read_b64 v[6:7], v0
	v_add_u32_e32 v5, -1, v5
	v_cmp_eq_u32_e32 vcc, 0, v5
	s_or_b64 s[2:3], vcc, s[2:3]
	v_add_u32_e32 v0, s19, v0
	s_waitcnt lgkmcnt(0)
	global_store_dwordx2 v[2:3], v[6:7], off
	v_add_co_u32_e32 v2, vcc, s0, v2
	v_addc_co_u32_e32 v3, vcc, v3, v1, vcc
	s_andn2_b64 exec, exec, s[2:3]
	s_cbranch_execnz .LBB11_52
.LBB11_53:
	s_endpgm
	.section	.rodata,"a",@progbits
	.p2align	6, 0x0
	.amdhsa_kernel _ZL30rocblas_trtri_remainder_kernelILi16E19rocblas_complex_numIfEPKS1_PS1_Ev13rocblas_fill_17rocblas_diagonal_iT1_lillT2_lilli
		.amdhsa_group_segment_fixed_size 8192
		.amdhsa_private_segment_fixed_size 0
		.amdhsa_kernarg_size 100
		.amdhsa_user_sgpr_count 6
		.amdhsa_user_sgpr_private_segment_buffer 1
		.amdhsa_user_sgpr_dispatch_ptr 0
		.amdhsa_user_sgpr_queue_ptr 0
		.amdhsa_user_sgpr_kernarg_segment_ptr 1
		.amdhsa_user_sgpr_dispatch_id 0
		.amdhsa_user_sgpr_flat_scratch_init 0
		.amdhsa_user_sgpr_kernarg_preload_length 0
		.amdhsa_user_sgpr_kernarg_preload_offset 0
		.amdhsa_user_sgpr_private_segment_size 0
		.amdhsa_uses_dynamic_stack 0
		.amdhsa_system_sgpr_private_segment_wavefront_offset 0
		.amdhsa_system_sgpr_workgroup_id_x 1
		.amdhsa_system_sgpr_workgroup_id_y 0
		.amdhsa_system_sgpr_workgroup_id_z 1
		.amdhsa_system_sgpr_workgroup_info 0
		.amdhsa_system_vgpr_workitem_id 0
		.amdhsa_next_free_vgpr 26
		.amdhsa_next_free_sgpr 45
		.amdhsa_accum_offset 28
		.amdhsa_reserve_vcc 1
		.amdhsa_reserve_flat_scratch 0
		.amdhsa_float_round_mode_32 0
		.amdhsa_float_round_mode_16_64 0
		.amdhsa_float_denorm_mode_32 3
		.amdhsa_float_denorm_mode_16_64 3
		.amdhsa_dx10_clamp 1
		.amdhsa_ieee_mode 1
		.amdhsa_fp16_overflow 0
		.amdhsa_tg_split 0
		.amdhsa_exception_fp_ieee_invalid_op 0
		.amdhsa_exception_fp_denorm_src 0
		.amdhsa_exception_fp_ieee_div_zero 0
		.amdhsa_exception_fp_ieee_overflow 0
		.amdhsa_exception_fp_ieee_underflow 0
		.amdhsa_exception_fp_ieee_inexact 0
		.amdhsa_exception_int_div_zero 0
	.end_amdhsa_kernel
	.section	.text._ZL30rocblas_trtri_remainder_kernelILi16E19rocblas_complex_numIfEPKS1_PS1_Ev13rocblas_fill_17rocblas_diagonal_iT1_lillT2_lilli,"axG",@progbits,_ZL30rocblas_trtri_remainder_kernelILi16E19rocblas_complex_numIfEPKS1_PS1_Ev13rocblas_fill_17rocblas_diagonal_iT1_lillT2_lilli,comdat
.Lfunc_end11:
	.size	_ZL30rocblas_trtri_remainder_kernelILi16E19rocblas_complex_numIfEPKS1_PS1_Ev13rocblas_fill_17rocblas_diagonal_iT1_lillT2_lilli, .Lfunc_end11-_ZL30rocblas_trtri_remainder_kernelILi16E19rocblas_complex_numIfEPKS1_PS1_Ev13rocblas_fill_17rocblas_diagonal_iT1_lillT2_lilli
                                        ; -- End function
	.section	.AMDGPU.csdata,"",@progbits
; Kernel info:
; codeLenInByte = 2424
; NumSgprs: 49
; NumVgprs: 26
; NumAgprs: 0
; TotalNumVgprs: 26
; ScratchSize: 0
; MemoryBound: 0
; FloatMode: 240
; IeeeMode: 1
; LDSByteSize: 8192 bytes/workgroup (compile time only)
; SGPRBlocks: 6
; VGPRBlocks: 3
; NumSGPRsForWavesPerEU: 49
; NumVGPRsForWavesPerEU: 26
; AccumOffset: 28
; Occupancy: 8
; WaveLimiterHint : 0
; COMPUTE_PGM_RSRC2:SCRATCH_EN: 0
; COMPUTE_PGM_RSRC2:USER_SGPR: 6
; COMPUTE_PGM_RSRC2:TRAP_HANDLER: 0
; COMPUTE_PGM_RSRC2:TGID_X_EN: 1
; COMPUTE_PGM_RSRC2:TGID_Y_EN: 0
; COMPUTE_PGM_RSRC2:TGID_Z_EN: 1
; COMPUTE_PGM_RSRC2:TIDIG_COMP_CNT: 0
; COMPUTE_PGM_RSRC3_GFX90A:ACCUM_OFFSET: 6
; COMPUTE_PGM_RSRC3_GFX90A:TG_SPLIT: 0
	.section	.text._ZL18rocblas_trtri_fillILi128E19rocblas_complex_numIdEPS1_EvP15_rocblas_handle13rocblas_fill_ililT1_llii,"axG",@progbits,_ZL18rocblas_trtri_fillILi128E19rocblas_complex_numIdEPS1_EvP15_rocblas_handle13rocblas_fill_ililT1_llii,comdat
	.globl	_ZL18rocblas_trtri_fillILi128E19rocblas_complex_numIdEPS1_EvP15_rocblas_handle13rocblas_fill_ililT1_llii ; -- Begin function _ZL18rocblas_trtri_fillILi128E19rocblas_complex_numIdEPS1_EvP15_rocblas_handle13rocblas_fill_ililT1_llii
	.p2align	8
	.type	_ZL18rocblas_trtri_fillILi128E19rocblas_complex_numIdEPS1_EvP15_rocblas_handle13rocblas_fill_ililT1_llii,@function
_ZL18rocblas_trtri_fillILi128E19rocblas_complex_numIdEPS1_EvP15_rocblas_handle13rocblas_fill_ililT1_llii: ; @_ZL18rocblas_trtri_fillILi128E19rocblas_complex_numIdEPS1_EvP15_rocblas_handle13rocblas_fill_ililT1_llii
; %bb.0:
	s_load_dword s1, s[4:5], 0x40
	s_load_dwordx2 s[2:3], s[4:5], 0x10
	s_mov_b32 s0, s6
	s_waitcnt lgkmcnt(0)
	s_ashr_i32 s6, s1, 31
	s_mul_i32 s8, s1, s3
	s_mul_hi_u32 s9, s1, s2
	s_mul_i32 s16, s1, s2
	s_mov_b32 s1, 0
	s_add_i32 s8, s9, s8
	s_mul_i32 s6, s6, s2
	s_lshl_b64 s[0:1], s[0:1], 7
	s_add_i32 s17, s8, s6
	v_or_b32_e32 v4, s0, v0
	v_mov_b32_e32 v5, s1
	v_cmp_gt_u64_e32 vcc, s[16:17], v[4:5]
	s_and_saveexec_b64 s[0:1], vcc
	s_cbranch_execz .LBB12_16
; %bb.1:
	v_cvt_f32_u32_e32 v1, s2
	v_cvt_f32_u32_e32 v2, s3
	s_load_dword s18, s[4:5], 0x18
	s_load_dwordx8 s[8:15], s[4:5], 0x20
	s_load_dwordx2 s[20:21], s[4:5], 0x8
	v_mov_b32_e32 v0, 0
	v_mov_b32_e32 v15, 0x260
	v_mac_f32_e32 v1, 0x4f800000, v2
	s_waitcnt lgkmcnt(0)
	s_mul_i32 s0, s7, s15
	s_mul_hi_u32 s1, s7, s14
	v_rcp_f32_e32 v1, v1
	v_cvt_f32_u32_e32 v2, s2
	s_add_i32 s1, s1, s0
	s_mul_i32 s0, s7, s14
	s_ashr_i32 s19, s18, 31
	s_lshl_b64 s[0:1], s[0:1], 4
	s_add_u32 s6, s10, s0
	s_addc_u32 s7, s11, s1
	s_lshl_b64 s[0:1], s[12:13], 4
	v_mul_f32_e32 v1, 0x5f7ffffc, v1
	v_rcp_iflag_f32_e32 v2, v2
	s_add_u32 s14, s6, s0
	v_mul_f32_e32 v3, 0x2f800000, v1
	s_addc_u32 s15, s7, s1
	s_add_i32 s0, s21, -2
	s_load_dword s6, s[4:5], 0x48
	s_load_dword s7, s[4:5], 0x54
	v_trunc_f32_e32 v3, v3
	v_cvt_f64_i32_e32 v[6:7], s0
	s_add_i32 s0, s21, -1
	v_mac_f32_e32 v1, 0xcf800000, v3
	s_mul_hi_i32 s1, s0, s21
	s_mul_i32 s0, s0, s21
	v_cvt_u32_f32_e32 v12, v1
	v_mul_f32_e32 v1, 0x4f7ffffe, v2
	s_ashr_i32 s22, s21, 31
	s_lshl_b64 s[4:5], s[0:1], 2
	v_cvt_u32_f32_e32 v13, v3
	v_cvt_u32_f32_e32 v14, v1
	s_mov_b32 s23, s21
	s_add_u32 s21, s4, -7
	s_addc_u32 s24, s5, -1
	s_lshr_b64 s[4:5], s[0:1], 1
	s_waitcnt lgkmcnt(0)
	s_and_b32 s0, s7, 0xffff
	s_mov_b32 s10, 0
	s_mul_hi_u32 s25, s0, s6
	s_mul_i32 s26, s0, s6
	s_mov_b64 s[6:7], 0
	s_brev_b32 s11, 8
	s_movk_i32 s27, 0xffe0
	v_mov_b32_e32 v16, 0xffffff80
	s_branch .LBB12_3
.LBB12_2:                               ;   in Loop: Header=BB12_3 Depth=1
	v_mov_b32_e32 v1, s25
	v_add_co_u32_e32 v4, vcc, s26, v4
	v_addc_co_u32_e32 v5, vcc, v5, v1, vcc
	v_cmp_le_u64_e32 vcc, s[16:17], v[4:5]
	s_or_b64 s[6:7], vcc, s[6:7]
	s_andn2_b64 exec, exec, s[6:7]
	s_cbranch_execz .LBB12_16
.LBB12_3:                               ; =>This Inner Loop Header: Depth=1
	v_or_b32_e32 v1, s3, v5
	v_cmp_ne_u64_e32 vcc, 0, v[0:1]
                                        ; implicit-def: $vgpr2_vgpr3
	s_and_saveexec_b64 s[0:1], vcc
	s_xor_b64 s[12:13], exec, s[0:1]
	s_cbranch_execz .LBB12_5
; %bb.4:                                ;   in Loop: Header=BB12_3 Depth=1
	s_sub_u32 s0, 0, s2
	s_subb_u32 s1, 0, s3
	v_mul_hi_u32 v2, s0, v12
	v_mul_lo_u32 v3, s0, v13
	v_mul_lo_u32 v1, s1, v12
	v_add_u32_e32 v2, v2, v3
	v_add_u32_e32 v1, v2, v1
	v_mul_lo_u32 v8, s0, v12
	v_mul_lo_u32 v3, v12, v1
	v_mul_hi_u32 v9, v12, v8
	v_mul_hi_u32 v2, v12, v1
	v_add_co_u32_e32 v3, vcc, v9, v3
	v_addc_co_u32_e32 v2, vcc, 0, v2, vcc
	v_mul_hi_u32 v10, v13, v8
	v_mul_lo_u32 v8, v13, v8
	v_add_co_u32_e32 v3, vcc, v3, v8
	v_mul_hi_u32 v9, v13, v1
	v_addc_co_u32_e32 v2, vcc, v2, v10, vcc
	v_addc_co_u32_e32 v3, vcc, 0, v9, vcc
	v_mul_lo_u32 v1, v13, v1
	v_add_co_u32_e32 v1, vcc, v2, v1
	v_addc_co_u32_e32 v2, vcc, 0, v3, vcc
	v_add_co_u32_e32 v1, vcc, v12, v1
	v_addc_co_u32_e32 v2, vcc, v13, v2, vcc
	v_mul_lo_u32 v3, s0, v2
	v_mul_hi_u32 v8, s0, v1
	v_add_u32_e32 v3, v8, v3
	v_mul_lo_u32 v8, s1, v1
	v_add_u32_e32 v3, v3, v8
	v_mul_lo_u32 v9, s0, v1
	v_mul_hi_u32 v10, v2, v9
	v_mul_lo_u32 v11, v2, v9
	v_mul_lo_u32 v18, v1, v3
	v_mul_hi_u32 v9, v1, v9
	v_mul_hi_u32 v17, v1, v3
	v_add_co_u32_e32 v9, vcc, v9, v18
	v_addc_co_u32_e32 v17, vcc, 0, v17, vcc
	v_add_co_u32_e32 v9, vcc, v9, v11
	v_mul_hi_u32 v8, v2, v3
	v_addc_co_u32_e32 v9, vcc, v17, v10, vcc
	v_addc_co_u32_e32 v8, vcc, 0, v8, vcc
	v_mul_lo_u32 v3, v2, v3
	v_add_co_u32_e32 v3, vcc, v9, v3
	v_addc_co_u32_e32 v8, vcc, 0, v8, vcc
	v_add_co_u32_e32 v1, vcc, v1, v3
	v_addc_co_u32_e32 v8, vcc, v2, v8, vcc
	v_mad_u64_u32 v[2:3], s[0:1], v4, v8, 0
	v_mul_hi_u32 v9, v4, v1
	v_add_co_u32_e32 v10, vcc, v9, v2
	v_addc_co_u32_e32 v11, vcc, 0, v3, vcc
	v_mad_u64_u32 v[2:3], s[0:1], v5, v8, 0
	v_mad_u64_u32 v[8:9], s[0:1], v5, v1, 0
	v_add_co_u32_e32 v1, vcc, v10, v8
	v_addc_co_u32_e32 v1, vcc, v11, v9, vcc
	v_addc_co_u32_e32 v3, vcc, 0, v3, vcc
	v_add_co_u32_e32 v1, vcc, v1, v2
	v_addc_co_u32_e32 v8, vcc, 0, v3, vcc
	v_mul_lo_u32 v9, s3, v1
	v_mul_lo_u32 v10, s2, v8
	v_mad_u64_u32 v[2:3], s[0:1], s2, v1, 0
	v_add3_u32 v3, v3, v10, v9
	v_sub_u32_e32 v9, v5, v3
	v_mov_b32_e32 v10, s3
	v_sub_co_u32_e32 v2, vcc, v4, v2
	v_subb_co_u32_e64 v9, s[0:1], v9, v10, vcc
	v_subrev_co_u32_e64 v10, s[0:1], s2, v2
	v_subbrev_co_u32_e64 v9, s[0:1], 0, v9, s[0:1]
	v_cmp_le_u32_e64 s[0:1], s3, v9
	v_cndmask_b32_e64 v11, 0, -1, s[0:1]
	v_cmp_le_u32_e64 s[0:1], s2, v10
	v_cndmask_b32_e64 v10, 0, -1, s[0:1]
	v_cmp_eq_u32_e64 s[0:1], s3, v9
	v_cndmask_b32_e64 v9, v11, v10, s[0:1]
	v_add_co_u32_e64 v10, s[0:1], 2, v1
	v_addc_co_u32_e64 v11, s[0:1], 0, v8, s[0:1]
	v_add_co_u32_e64 v17, s[0:1], 1, v1
	v_addc_co_u32_e64 v18, s[0:1], 0, v8, s[0:1]
	v_subb_co_u32_e32 v3, vcc, v5, v3, vcc
	v_cmp_ne_u32_e64 s[0:1], 0, v9
	v_cmp_le_u32_e32 vcc, s3, v3
	v_cndmask_b32_e64 v9, v18, v11, s[0:1]
	v_cndmask_b32_e64 v11, 0, -1, vcc
	v_cmp_le_u32_e32 vcc, s2, v2
	v_cndmask_b32_e64 v2, 0, -1, vcc
	v_cmp_eq_u32_e32 vcc, s3, v3
	v_cndmask_b32_e32 v2, v11, v2, vcc
	v_cmp_ne_u32_e32 vcc, 0, v2
	v_cndmask_b32_e64 v2, v17, v10, s[0:1]
	v_cndmask_b32_e32 v3, v8, v9, vcc
	v_cndmask_b32_e32 v2, v1, v2, vcc
.LBB12_5:                               ;   in Loop: Header=BB12_3 Depth=1
	s_andn2_saveexec_b64 s[0:1], s[12:13]
	s_cbranch_execz .LBB12_7
; %bb.6:                                ;   in Loop: Header=BB12_3 Depth=1
	s_sub_i32 s12, 0, s2
	v_mul_lo_u32 v1, s12, v14
	v_mul_hi_u32 v1, v14, v1
	v_add_u32_e32 v1, v14, v1
	v_mul_hi_u32 v1, v4, v1
	v_mul_lo_u32 v2, v1, s2
	v_sub_u32_e32 v2, v4, v2
	v_subrev_u32_e32 v3, s2, v2
	v_cmp_le_u32_e32 vcc, s2, v2
	v_cndmask_b32_e32 v2, v2, v3, vcc
	v_add_u32_e32 v3, 1, v1
	v_cndmask_b32_e32 v1, v1, v3, vcc
	v_add_u32_e32 v3, 1, v1
	v_cmp_le_u32_e32 vcc, s2, v2
	v_cndmask_b32_e32 v2, v1, v3, vcc
	v_mov_b32_e32 v3, v0
.LBB12_7:                               ;   in Loop: Header=BB12_3 Depth=1
	s_or_b64 exec, exec, s[0:1]
	v_mul_lo_u32 v1, v3, s2
	v_mul_lo_u32 v10, v2, s3
	v_mad_u64_u32 v[8:9], s[0:1], v2, s2, 0
	v_add3_u32 v1, v9, v10, v1
	v_sub_co_u32_e32 v8, vcc, v4, v8
	s_cmpk_lt_i32 s20, 0x7a
	v_subb_co_u32_e32 v9, vcc, v5, v1, vcc
	s_cbranch_scc1 .LBB12_10
; %bb.8:                                ;   in Loop: Header=BB12_3 Depth=1
	s_mov_b64 s[0:1], 0
	s_cmpk_eq_i32 s20, 0x7a
	s_mov_b64 s[12:13], 0
                                        ; implicit-def: $vgpr10_vgpr11
	s_cbranch_scc0 .LBB12_11
; %bb.9:                                ;   in Loop: Header=BB12_3 Depth=1
	v_lshlrev_b64 v[10:11], 3, v[8:9]
	v_mov_b32_e32 v1, s24
	v_sub_co_u32_e32 v17, vcc, s21, v10
	v_subb_co_u32_e32 v1, vcc, v1, v11, vcc
	v_cvt_f64_u32_e32 v[10:11], v1
	v_ldexp_f64 v[10:11], v[10:11], 32
	v_cvt_f64_u32_e32 v[18:19], v17
	v_add_f64 v[10:11], v[10:11], v[18:19]
	v_cmp_gt_f64_e32 vcc, s[10:11], v[10:11]
	v_cndmask_b32_e64 v1, 0, 1, vcc
	v_lshlrev_b32_e32 v1, 8, v1
	v_ldexp_f64 v[10:11], v[10:11], v1
	v_rsq_f64_e32 v[18:19], v[10:11]
	v_cndmask_b32_e32 v1, 0, v16, vcc
	v_cmp_class_f64_e32 vcc, v[10:11], v15
	v_mul_f64 v[20:21], v[10:11], v[18:19]
	v_mul_f64 v[18:19], v[18:19], 0.5
	v_fma_f64 v[22:23], -v[18:19], v[20:21], 0.5
	v_fmac_f64_e32 v[20:21], v[20:21], v[22:23]
	v_fma_f64 v[24:25], -v[20:21], v[20:21], v[10:11]
	v_fmac_f64_e32 v[18:19], v[18:19], v[22:23]
	v_fmac_f64_e32 v[20:21], v[24:25], v[18:19]
	v_fma_f64 v[22:23], -v[20:21], v[20:21], v[10:11]
	v_fmac_f64_e32 v[20:21], v[22:23], v[18:19]
	v_ldexp_f64 v[18:19], v[20:21], v1
	v_cndmask_b32_e32 v11, v19, v11, vcc
	v_cndmask_b32_e32 v10, v18, v10, vcc
	v_fma_f64 v[10:11], v[10:11], 0.5, -0.5
	v_floor_f64_e32 v[10:11], v[10:11]
	v_add_f64 v[10:11], v[6:7], -v[10:11]
	v_trunc_f64_e32 v[10:11], v[10:11]
	v_ldexp_f64 v[18:19], v[10:11], s27
	v_floor_f64_e32 v[18:19], v[18:19]
	v_fmac_f64_e32 v[10:11], 0xc1f00000, v[18:19]
	v_cvt_u32_f64_e32 v10, v[10:11]
	v_cvt_u32_f64_e32 v11, v[18:19]
	v_mov_b32_e32 v1, s5
	v_subrev_co_u32_e32 v18, vcc, s4, v8
	v_subb_co_u32_e32 v19, vcc, v9, v1, vcc
	v_mov_b32_e32 v1, s22
	v_sub_co_u32_e32 v17, vcc, s23, v10
	v_subb_co_u32_e32 v1, vcc, v1, v11, vcc
	v_add_co_u32_e32 v20, vcc, -1, v17
	v_addc_co_u32_e32 v21, vcc, -1, v1, vcc
	v_mul_lo_u32 v22, v21, v17
	v_mul_lo_u32 v1, v20, v1
	v_mad_u64_u32 v[20:21], s[12:13], v20, v17, 0
	v_add3_u32 v21, v21, v1, v22
	v_mul_lo_u32 v1, v3, s8
	v_mul_lo_u32 v17, v2, s9
	v_mad_u64_u32 v[22:23], s[12:13], v2, s8, 0
	v_add3_u32 v23, v23, v17, v1
	v_mul_lo_u32 v1, v10, s19
	v_mad_u64_u32 v[24:25], s[12:13], v10, s18, 0
	v_mul_lo_u32 v17, v11, s18
	v_lshlrev_b64 v[22:23], 4, v[22:23]
	v_add3_u32 v25, v25, v1, v17
	v_mov_b32_e32 v1, s15
	v_add_co_u32_e32 v17, vcc, s14, v22
	v_addc_co_u32_e32 v1, vcc, v1, v23, vcc
	v_lshlrev_b64 v[22:23], 4, v[24:25]
	v_add_co_u32_e32 v17, vcc, v17, v22
	v_addc_co_u32_e32 v1, vcc, v1, v23, vcc
	v_lshlrev_b64 v[18:19], 4, v[18:19]
	;; [unrolled: 3-line block ×4, first 2 shown]
	v_and_b32_e32 v10, -16, v10
	v_add_co_u32_e32 v10, vcc, v17, v10
	v_addc_co_u32_e32 v1, vcc, v1, v11, vcc
	v_add_co_u32_e32 v10, vcc, 16, v10
	v_addc_co_u32_e32 v11, vcc, 0, v1, vcc
	s_mov_b64 s[12:13], -1
	s_branch .LBB12_11
.LBB12_10:                              ;   in Loop: Header=BB12_3 Depth=1
	s_mov_b64 s[0:1], -1
	s_mov_b64 s[12:13], 0
                                        ; implicit-def: $vgpr10_vgpr11
.LBB12_11:                              ;   in Loop: Header=BB12_3 Depth=1
	s_and_b64 vcc, exec, s[0:1]
	s_cbranch_vccz .LBB12_14
; %bb.12:                               ;   in Loop: Header=BB12_3 Depth=1
	s_cmpk_eq_i32 s20, 0x79
                                        ; implicit-def: $vgpr10_vgpr11
	s_cbranch_scc0 .LBB12_14
; %bb.13:                               ;   in Loop: Header=BB12_3 Depth=1
	v_lshlrev_b64 v[10:11], 3, v[8:9]
	v_or_b32_e32 v1, 1, v10
	v_cvt_f64_u32_e32 v[10:11], v11
	v_ldexp_f64 v[10:11], v[10:11], 32
	v_cvt_f64_u32_e32 v[18:19], v1
	v_add_f64 v[10:11], v[10:11], v[18:19]
	v_cmp_gt_f64_e32 vcc, s[10:11], v[10:11]
	v_cndmask_b32_e64 v1, 0, 1, vcc
	v_lshlrev_b32_e32 v1, 8, v1
	v_ldexp_f64 v[10:11], v[10:11], v1
	v_rsq_f64_e32 v[18:19], v[10:11]
	v_cndmask_b32_e32 v1, 0, v16, vcc
	v_cmp_class_f64_e32 vcc, v[10:11], v15
	v_mul_lo_u32 v17, v2, s9
	v_mul_f64 v[20:21], v[10:11], v[18:19]
	v_mul_f64 v[18:19], v[18:19], 0.5
	v_fma_f64 v[22:23], -v[18:19], v[20:21], 0.5
	v_fmac_f64_e32 v[20:21], v[20:21], v[22:23]
	v_fma_f64 v[24:25], -v[20:21], v[20:21], v[10:11]
	v_fmac_f64_e32 v[18:19], v[18:19], v[22:23]
	v_fmac_f64_e32 v[20:21], v[24:25], v[18:19]
	v_fma_f64 v[22:23], -v[20:21], v[20:21], v[10:11]
	v_fmac_f64_e32 v[20:21], v[22:23], v[18:19]
	v_ldexp_f64 v[18:19], v[20:21], v1
	v_cndmask_b32_e32 v11, v19, v11, vcc
	v_cndmask_b32_e32 v10, v18, v10, vcc
	v_add_f64 v[10:11], v[10:11], -1.0
	v_mul_f64 v[10:11], v[10:11], 0.5
	v_trunc_f64_e32 v[10:11], v[10:11]
	v_ldexp_f64 v[18:19], v[10:11], s27
	v_floor_f64_e32 v[18:19], v[18:19]
	v_fmac_f64_e32 v[10:11], 0xc1f00000, v[18:19]
	v_cvt_u32_f64_e32 v10, v[10:11]
	v_cvt_u32_f64_e32 v11, v[18:19]
	v_mad_u64_u32 v[18:19], s[0:1], v10, v10, v[10:11]
	v_mul_lo_u32 v1, v10, v11
	v_add3_u32 v19, v1, v19, v1
	v_lshrrev_b64 v[18:19], 1, v[18:19]
	v_sub_co_u32_e32 v8, vcc, v8, v18
	v_mul_lo_u32 v1, v3, s8
	v_mad_u64_u32 v[2:3], s[0:1], v2, s8, 0
	v_subb_co_u32_e32 v9, vcc, v9, v19, vcc
	v_add3_u32 v3, v3, v17, v1
	v_pk_mov_b32 v[18:19], s[18:19], s[18:19] op_sel:[0,1]
	v_mul_lo_u32 v1, s19, v10
	v_mad_u64_u32 v[18:19], s[0:1], s18, v10, v[18:19]
	v_mul_lo_u32 v10, s18, v11
	v_lshlrev_b64 v[2:3], 4, v[2:3]
	v_add3_u32 v19, v1, v19, v10
	v_mov_b32_e32 v1, s15
	v_add_co_u32_e32 v10, vcc, s14, v2
	v_addc_co_u32_e32 v1, vcc, v1, v3, vcc
	v_lshlrev_b64 v[2:3], 4, v[18:19]
	v_add_co_u32_e32 v10, vcc, v10, v2
	v_addc_co_u32_e32 v1, vcc, v1, v3, vcc
	v_lshlrev_b64 v[2:3], 4, v[8:9]
	v_add_co_u32_e32 v10, vcc, v10, v2
	v_addc_co_u32_e32 v11, vcc, v1, v3, vcc
	s_mov_b64 s[12:13], -1
.LBB12_14:                              ;   in Loop: Header=BB12_3 Depth=1
	s_and_b64 vcc, exec, s[12:13]
	s_cbranch_vccz .LBB12_2
; %bb.15:                               ;   in Loop: Header=BB12_3 Depth=1
	v_mov_b32_e32 v1, v0
	v_mov_b32_e32 v2, v0
	;; [unrolled: 1-line block ×3, first 2 shown]
	global_store_dwordx4 v[10:11], v[0:3], off
	s_branch .LBB12_2
.LBB12_16:
	s_endpgm
	.section	.rodata,"a",@progbits
	.p2align	6, 0x0
	.amdhsa_kernel _ZL18rocblas_trtri_fillILi128E19rocblas_complex_numIdEPS1_EvP15_rocblas_handle13rocblas_fill_ililT1_llii
		.amdhsa_group_segment_fixed_size 0
		.amdhsa_private_segment_fixed_size 0
		.amdhsa_kernarg_size 328
		.amdhsa_user_sgpr_count 6
		.amdhsa_user_sgpr_private_segment_buffer 1
		.amdhsa_user_sgpr_dispatch_ptr 0
		.amdhsa_user_sgpr_queue_ptr 0
		.amdhsa_user_sgpr_kernarg_segment_ptr 1
		.amdhsa_user_sgpr_dispatch_id 0
		.amdhsa_user_sgpr_flat_scratch_init 0
		.amdhsa_user_sgpr_kernarg_preload_length 0
		.amdhsa_user_sgpr_kernarg_preload_offset 0
		.amdhsa_user_sgpr_private_segment_size 0
		.amdhsa_uses_dynamic_stack 0
		.amdhsa_system_sgpr_private_segment_wavefront_offset 0
		.amdhsa_system_sgpr_workgroup_id_x 1
		.amdhsa_system_sgpr_workgroup_id_y 0
		.amdhsa_system_sgpr_workgroup_id_z 1
		.amdhsa_system_sgpr_workgroup_info 0
		.amdhsa_system_vgpr_workitem_id 0
		.amdhsa_next_free_vgpr 26
		.amdhsa_next_free_sgpr 28
		.amdhsa_accum_offset 28
		.amdhsa_reserve_vcc 1
		.amdhsa_reserve_flat_scratch 0
		.amdhsa_float_round_mode_32 0
		.amdhsa_float_round_mode_16_64 0
		.amdhsa_float_denorm_mode_32 3
		.amdhsa_float_denorm_mode_16_64 3
		.amdhsa_dx10_clamp 1
		.amdhsa_ieee_mode 1
		.amdhsa_fp16_overflow 0
		.amdhsa_tg_split 0
		.amdhsa_exception_fp_ieee_invalid_op 0
		.amdhsa_exception_fp_denorm_src 0
		.amdhsa_exception_fp_ieee_div_zero 0
		.amdhsa_exception_fp_ieee_overflow 0
		.amdhsa_exception_fp_ieee_underflow 0
		.amdhsa_exception_fp_ieee_inexact 0
		.amdhsa_exception_int_div_zero 0
	.end_amdhsa_kernel
	.section	.text._ZL18rocblas_trtri_fillILi128E19rocblas_complex_numIdEPS1_EvP15_rocblas_handle13rocblas_fill_ililT1_llii,"axG",@progbits,_ZL18rocblas_trtri_fillILi128E19rocblas_complex_numIdEPS1_EvP15_rocblas_handle13rocblas_fill_ililT1_llii,comdat
.Lfunc_end12:
	.size	_ZL18rocblas_trtri_fillILi128E19rocblas_complex_numIdEPS1_EvP15_rocblas_handle13rocblas_fill_ililT1_llii, .Lfunc_end12-_ZL18rocblas_trtri_fillILi128E19rocblas_complex_numIdEPS1_EvP15_rocblas_handle13rocblas_fill_ililT1_llii
                                        ; -- End function
	.section	.AMDGPU.csdata,"",@progbits
; Kernel info:
; codeLenInByte = 1960
; NumSgprs: 32
; NumVgprs: 26
; NumAgprs: 0
; TotalNumVgprs: 26
; ScratchSize: 0
; MemoryBound: 0
; FloatMode: 240
; IeeeMode: 1
; LDSByteSize: 0 bytes/workgroup (compile time only)
; SGPRBlocks: 3
; VGPRBlocks: 3
; NumSGPRsForWavesPerEU: 32
; NumVGPRsForWavesPerEU: 26
; AccumOffset: 28
; Occupancy: 8
; WaveLimiterHint : 0
; COMPUTE_PGM_RSRC2:SCRATCH_EN: 0
; COMPUTE_PGM_RSRC2:USER_SGPR: 6
; COMPUTE_PGM_RSRC2:TRAP_HANDLER: 0
; COMPUTE_PGM_RSRC2:TGID_X_EN: 1
; COMPUTE_PGM_RSRC2:TGID_Y_EN: 0
; COMPUTE_PGM_RSRC2:TGID_Z_EN: 1
; COMPUTE_PGM_RSRC2:TIDIG_COMP_CNT: 0
; COMPUTE_PGM_RSRC3_GFX90A:ACCUM_OFFSET: 6
; COMPUTE_PGM_RSRC3_GFX90A:TG_SPLIT: 0
	.section	.text._ZL26rocblas_trtri_small_kernelILi16E19rocblas_complex_numIdEPKS1_PS1_Ev13rocblas_fill_17rocblas_diagonal_iT1_lillT2_lilli,"axG",@progbits,_ZL26rocblas_trtri_small_kernelILi16E19rocblas_complex_numIdEPKS1_PS1_Ev13rocblas_fill_17rocblas_diagonal_iT1_lillT2_lilli,comdat
	.globl	_ZL26rocblas_trtri_small_kernelILi16E19rocblas_complex_numIdEPKS1_PS1_Ev13rocblas_fill_17rocblas_diagonal_iT1_lillT2_lilli ; -- Begin function _ZL26rocblas_trtri_small_kernelILi16E19rocblas_complex_numIdEPKS1_PS1_Ev13rocblas_fill_17rocblas_diagonal_iT1_lillT2_lilli
	.p2align	8
	.type	_ZL26rocblas_trtri_small_kernelILi16E19rocblas_complex_numIdEPKS1_PS1_Ev13rocblas_fill_17rocblas_diagonal_iT1_lillT2_lilli,@function
_ZL26rocblas_trtri_small_kernelILi16E19rocblas_complex_numIdEPKS1_PS1_Ev13rocblas_fill_17rocblas_diagonal_iT1_lillT2_lilli: ; @_ZL26rocblas_trtri_small_kernelILi16E19rocblas_complex_numIdEPKS1_PS1_Ev13rocblas_fill_17rocblas_diagonal_iT1_lillT2_lilli
; %bb.0:
	s_load_dwordx4 s[16:19], s[4:5], 0x0
	s_waitcnt lgkmcnt(0)
	s_cmp_lt_i32 s18, 1
	s_cbranch_scc1 .LBB13_51
; %bb.1:
	s_load_dwordx8 s[8:15], s[4:5], 0x28
	v_cmp_le_u32_e64 s[2:3], s18, v0
	v_cmp_gt_u32_e64 s[0:1], s18, v0
	s_and_saveexec_b64 s[24:25], s[0:1]
	s_cbranch_execz .LBB13_14
; %bb.2:
	s_load_dwordx4 s[20:23], s[4:5], 0x10
	s_load_dword s26, s[4:5], 0x20
	s_waitcnt lgkmcnt(0)
	s_mul_i32 s9, s7, s9
	s_mul_hi_u32 s19, s7, s8
	s_add_i32 s9, s19, s9
	s_mul_i32 s11, s6, s11
	s_mul_hi_u32 s19, s6, s10
	s_add_i32 s11, s19, s11
	s_mul_i32 s8, s7, s8
	s_mul_i32 s10, s6, s10
	s_cmpk_lg_i32 s16, 0x7a
	s_mov_b64 s[28:29], -1
	s_cbranch_scc0 .LBB13_6
; %bb.3:
	s_ashr_i32 s27, s26, 31
	s_lshl_b32 s19, s18, 4
	s_ashr_i32 s28, s18, 31
	s_add_u32 s30, s18, -1
	s_addc_u32 s28, s28, -1
	s_mul_i32 s29, s30, s27
	s_mul_hi_u32 s31, s30, s26
	s_add_i32 s29, s31, s29
	s_mul_i32 s28, s28, s26
	s_add_i32 s29, s29, s28
	s_mul_i32 s28, s30, s26
	s_lshl_b64 s[28:29], s[28:29], 4
	s_lshl_b64 s[30:31], s[10:11], 4
	s_add_u32 s30, s28, s30
	s_addc_u32 s31, s29, s31
	s_lshl_b64 s[28:29], s[8:9], 4
	s_add_u32 s30, s30, s28
	s_addc_u32 s31, s31, s29
	;; [unrolled: 3-line block ×3, first 2 shown]
	s_add_u32 s28, s20, s28
	s_addc_u32 s29, s21, s29
	s_lshl_b64 s[30:31], s[26:27], 4
	v_lshlrev_b32_e32 v2, 4, v0
	s_sub_u32 s27, 0, s30
	v_sub_u32_e32 v1, s19, v2
	v_mov_b32_e32 v3, s29
	v_add_co_u32_e32 v2, vcc, s28, v2
	s_subb_u32 s30, 0, s31
	v_add_u32_e32 v1, -16, v1
	v_addc_co_u32_e32 v3, vcc, 0, v3, vcc
	s_mov_b64 s[28:29], 0
	v_mov_b32_e32 v4, s30
	s_mov_b32 s30, s18
.LBB13_4:                               ; =>This Inner Loop Header: Depth=1
	global_load_dwordx4 v[6:9], v[2:3], off
	v_add_co_u32_e32 v2, vcc, s27, v2
	s_add_i32 s30, s30, -1
	v_addc_co_u32_e32 v3, vcc, v3, v4, vcc
	v_cmp_le_i32_e32 vcc, s30, v0
	s_or_b64 s[28:29], vcc, s[28:29]
	s_waitcnt vmcnt(0)
	ds_write2_b64 v1, v[6:7], v[8:9] offset1:1
	v_add_u32_e32 v1, s19, v1
	s_andn2_b64 exec, exec, s[28:29]
	s_cbranch_execnz .LBB13_4
; %bb.5:
	s_or_b64 exec, exec, s[28:29]
	s_mov_b64 s[28:29], 0
.LBB13_6:
	s_and_b64 vcc, exec, s[28:29]
	s_cbranch_vccz .LBB13_14
; %bb.7:
	v_mov_b32_e32 v1, 0
	s_ashr_i32 s27, s26, 31
	v_add_u32_e32 v4, 1, v0
	v_cmp_lt_u32_e32 vcc, 2, v0
	s_and_saveexec_b64 s[28:29], vcc
	s_cbranch_execz .LBB13_11
; %bb.8:
	s_lshl_b64 s[30:31], s[8:9], 4
	s_add_u32 s19, s20, s30
	s_addc_u32 s33, s21, s31
	s_lshl_b64 s[30:31], s[22:23], 4
	s_add_u32 s19, s19, s30
	s_addc_u32 s33, s33, s31
	;; [unrolled: 3-line block ×3, first 2 shown]
	v_lshlrev_b32_e32 v5, 4, v0
	v_mov_b32_e32 v1, s30
	v_add_co_u32_e32 v2, vcc, s19, v5
	s_mul_hi_i32 s44, s26, 48
	s_lshl_b64 s[30:31], s[26:27], 6
	s_lshl_b64 s[34:35], s[26:27], 5
	;; [unrolled: 1-line block ×3, first 2 shown]
	v_addc_co_u32_e32 v3, vcc, 0, v1, vcc
	v_and_b32_e32 v1, 28, v4
	s_mul_i32 s19, s26, 48
	s_lshl_b32 s33, s18, 4
	s_lshl_b32 s40, s18, 6
	s_lshl_b32 s41, s18, 5
	s_mul_i32 s42, s18, 48
	s_mov_b32 s43, 0
	s_mov_b64 s[38:39], 0
	v_mov_b32_e32 v6, s37
	v_mov_b32_e32 v7, s35
	;; [unrolled: 1-line block ×4, first 2 shown]
.LBB13_9:                               ; =>This Inner Loop Header: Depth=1
	v_add_co_u32_e32 v26, vcc, s36, v2
	v_addc_co_u32_e32 v27, vcc, v3, v6, vcc
	v_add_co_u32_e32 v28, vcc, s34, v2
	v_addc_co_u32_e32 v29, vcc, v3, v7, vcc
	global_load_dwordx4 v[10:13], v[2:3], off
	v_add_co_u32_e32 v30, vcc, s19, v2
	v_addc_co_u32_e32 v31, vcc, v3, v8, vcc
	global_load_dwordx4 v[14:17], v[26:27], off
	global_load_dwordx4 v[18:21], v[28:29], off
	;; [unrolled: 1-line block ×3, first 2 shown]
	v_add_co_u32_e32 v2, vcc, s30, v2
	s_add_i32 s43, s43, 4
	v_addc_co_u32_e32 v3, vcc, v3, v9, vcc
	v_cmp_eq_u32_e32 vcc, s43, v1
	v_add_u32_e32 v26, s33, v5
	v_add_u32_e32 v27, s41, v5
	;; [unrolled: 1-line block ×3, first 2 shown]
	s_or_b64 s[38:39], vcc, s[38:39]
	s_waitcnt vmcnt(3)
	ds_write2_b64 v5, v[10:11], v[12:13] offset1:1
	v_add_u32_e32 v5, s40, v5
	s_waitcnt vmcnt(2)
	ds_write2_b64 v26, v[14:15], v[16:17] offset1:1
	s_waitcnt vmcnt(1)
	ds_write2_b64 v27, v[18:19], v[20:21] offset1:1
	;; [unrolled: 2-line block ×3, first 2 shown]
	s_andn2_b64 exec, exec, s[38:39]
	s_cbranch_execnz .LBB13_9
; %bb.10:
	s_or_b64 exec, exec, s[38:39]
.LBB13_11:
	s_or_b64 exec, exec, s[28:29]
	v_and_b32_e32 v4, 3, v4
	v_cmp_ne_u32_e32 vcc, 0, v4
	s_and_b64 exec, exec, vcc
	s_cbranch_execz .LBB13_14
; %bb.12:
	s_lshl_b32 s19, s18, 4
	s_lshl_b64 s[10:11], s[10:11], 4
	s_lshl_b64 s[8:9], s[8:9], 4
	v_mul_lo_u32 v2, v1, s18
	s_add_u32 s10, s10, s8
	v_add_lshl_u32 v5, v0, v2, 4
	s_addc_u32 s11, s11, s9
	v_mad_i64_i32 v[2:3], s[8:9], s26, v1, 0
	s_lshl_b64 s[8:9], s[22:23], 4
	s_add_u32 s8, s8, s10
	v_lshlrev_b64 v[2:3], 4, v[2:3]
	s_addc_u32 s9, s9, s11
	v_mov_b32_e32 v1, s9
	v_add_co_u32_e32 v2, vcc, s8, v2
	v_addc_co_u32_e32 v1, vcc, v1, v3, vcc
	v_lshlrev_b32_e32 v3, 4, v0
	v_add_co_u32_e32 v2, vcc, v2, v3
	v_addc_co_u32_e32 v1, vcc, 0, v1, vcc
	v_mov_b32_e32 v3, s21
	v_add_co_u32_e32 v2, vcc, s20, v2
	s_lshl_b64 s[8:9], s[26:27], 4
	v_addc_co_u32_e32 v3, vcc, v3, v1, vcc
	s_mov_b64 s[10:11], 0
	v_mov_b32_e32 v1, s9
.LBB13_13:                              ; =>This Inner Loop Header: Depth=1
	global_load_dwordx4 v[6:9], v[2:3], off
	v_add_co_u32_e32 v2, vcc, s8, v2
	v_addc_co_u32_e32 v3, vcc, v3, v1, vcc
	v_add_u32_e32 v4, -1, v4
	v_cmp_eq_u32_e32 vcc, 0, v4
	s_or_b64 s[10:11], vcc, s[10:11]
	s_waitcnt vmcnt(0)
	ds_write2_b64 v5, v[6:7], v[8:9] offset1:1
	v_add_u32_e32 v5, s19, v5
	s_andn2_b64 exec, exec, s[10:11]
	s_cbranch_execnz .LBB13_13
.LBB13_14:
	s_or_b64 exec, exec, s[24:25]
	s_waitcnt lgkmcnt(0)
	; wave barrier
	s_waitcnt lgkmcnt(0)
                                        ; implicit-def: $vgpr10
	s_waitcnt lgkmcnt(0)
	s_and_saveexec_b64 s[8:9], s[2:3]
	s_xor_b64 s[2:3], exec, s[8:9]
; %bb.15:
	v_mad_u64_u32 v[10:11], s[8:9], v0, s18, v[0:1]
; %bb.16:
	s_andn2_saveexec_b64 s[8:9], s[2:3]
	s_cbranch_execz .LBB13_27
; %bb.17:
	v_mad_u64_u32 v[10:11], s[2:3], v0, s18, v[0:1]
	s_cmpk_eq_i32 s17, 0x84
	v_lshlrev_b32_e32 v1, 4, v10
	s_cbranch_scc1 .LBB13_25
; %bb.18:
	ds_read_b128 v[2:5], v1
	v_mov_b32_e32 v6, 0
	v_pk_mov_b32 v[8:9], 0, 0
	v_mov_b32_e32 v7, 0x3ff00000
	s_waitcnt lgkmcnt(0)
	v_cmp_neq_f64_e32 vcc, 0, v[2:3]
	v_cmp_neq_f64_e64 s[2:3], 0, v[4:5]
	s_or_b64 s[10:11], vcc, s[2:3]
	s_and_saveexec_b64 s[2:3], s[10:11]
	s_cbranch_execz .LBB13_24
; %bb.19:
	v_xor_b32_e32 v6, 0x80000000, v3
	v_cmp_gt_f64_e32 vcc, 0, v[2:3]
	v_cndmask_b32_e32 v7, v3, v6, vcc
	v_cndmask_b32_e32 v6, v2, v2, vcc
	v_xor_b32_e32 v8, 0x80000000, v5
	v_cmp_gt_f64_e32 vcc, 0, v[4:5]
	v_cndmask_b32_e32 v9, v5, v8, vcc
	v_cndmask_b32_e32 v8, v4, v4, vcc
	v_cmp_ngt_f64_e32 vcc, v[6:7], v[8:9]
                                        ; implicit-def: $vgpr8_vgpr9
	s_and_saveexec_b64 s[10:11], vcc
	s_xor_b64 s[10:11], exec, s[10:11]
	s_cbranch_execz .LBB13_21
; %bb.20:
	v_div_scale_f64 v[6:7], s[20:21], v[4:5], v[4:5], v[2:3]
	v_rcp_f64_e32 v[8:9], v[6:7]
	v_div_scale_f64 v[12:13], vcc, v[2:3], v[4:5], v[2:3]
	v_fma_f64 v[14:15], -v[6:7], v[8:9], 1.0
	v_fmac_f64_e32 v[8:9], v[8:9], v[14:15]
	v_fma_f64 v[14:15], -v[6:7], v[8:9], 1.0
	v_fmac_f64_e32 v[8:9], v[8:9], v[14:15]
	v_mul_f64 v[14:15], v[12:13], v[8:9]
	v_fma_f64 v[6:7], -v[6:7], v[14:15], v[12:13]
	v_div_fmas_f64 v[6:7], v[6:7], v[8:9], v[14:15]
	v_div_fixup_f64 v[6:7], v[6:7], v[4:5], v[2:3]
	v_fmac_f64_e32 v[4:5], v[2:3], v[6:7]
	v_div_scale_f64 v[2:3], s[20:21], v[4:5], v[4:5], 1.0
	v_rcp_f64_e32 v[8:9], v[2:3]
	v_fma_f64 v[12:13], -v[2:3], v[8:9], 1.0
	v_fmac_f64_e32 v[8:9], v[8:9], v[12:13]
	v_fma_f64 v[12:13], -v[2:3], v[8:9], 1.0
	v_fmac_f64_e32 v[8:9], v[8:9], v[12:13]
	v_div_scale_f64 v[12:13], vcc, 1.0, v[4:5], 1.0
	v_mul_f64 v[14:15], v[12:13], v[8:9]
	v_fma_f64 v[2:3], -v[2:3], v[14:15], v[12:13]
	s_nop 1
	v_div_fmas_f64 v[2:3], v[2:3], v[8:9], v[14:15]
	v_div_fixup_f64 v[8:9], v[2:3], v[4:5], 1.0
	v_mul_f64 v[6:7], v[6:7], v[8:9]
	v_xor_b32_e32 v9, 0x80000000, v9
                                        ; implicit-def: $vgpr2_vgpr3
.LBB13_21:
	s_andn2_saveexec_b64 s[10:11], s[10:11]
	s_cbranch_execz .LBB13_23
; %bb.22:
	v_div_scale_f64 v[6:7], s[20:21], v[2:3], v[2:3], v[4:5]
	v_rcp_f64_e32 v[8:9], v[6:7]
	v_div_scale_f64 v[12:13], vcc, v[4:5], v[2:3], v[4:5]
	v_fma_f64 v[14:15], -v[6:7], v[8:9], 1.0
	v_fmac_f64_e32 v[8:9], v[8:9], v[14:15]
	v_fma_f64 v[14:15], -v[6:7], v[8:9], 1.0
	v_fmac_f64_e32 v[8:9], v[8:9], v[14:15]
	v_mul_f64 v[14:15], v[12:13], v[8:9]
	v_fma_f64 v[6:7], -v[6:7], v[14:15], v[12:13]
	v_div_fmas_f64 v[6:7], v[6:7], v[8:9], v[14:15]
	v_div_fixup_f64 v[8:9], v[6:7], v[2:3], v[4:5]
	v_fmac_f64_e32 v[2:3], v[4:5], v[8:9]
	v_div_scale_f64 v[4:5], s[20:21], v[2:3], v[2:3], 1.0
	v_rcp_f64_e32 v[6:7], v[4:5]
	v_fma_f64 v[12:13], -v[4:5], v[6:7], 1.0
	v_fmac_f64_e32 v[6:7], v[6:7], v[12:13]
	v_fma_f64 v[12:13], -v[4:5], v[6:7], 1.0
	v_fmac_f64_e32 v[6:7], v[6:7], v[12:13]
	v_div_scale_f64 v[12:13], vcc, 1.0, v[2:3], 1.0
	v_mul_f64 v[14:15], v[12:13], v[6:7]
	v_fma_f64 v[4:5], -v[4:5], v[14:15], v[12:13]
	s_nop 1
	v_div_fmas_f64 v[4:5], v[4:5], v[6:7], v[14:15]
	v_div_fixup_f64 v[6:7], v[4:5], v[2:3], 1.0
	v_mul_f64 v[8:9], v[8:9], -v[6:7]
.LBB13_23:
	s_or_b64 exec, exec, s[10:11]
.LBB13_24:
	s_or_b64 exec, exec, s[2:3]
	s_branch .LBB13_26
.LBB13_25:
	v_mov_b32_e32 v6, 0
	v_mov_b32_e32 v7, 0x3ff00000
	v_pk_mov_b32 v[8:9], 0, 0
.LBB13_26:
	ds_write_b128 v1, v[6:9]
.LBB13_27:
	s_or_b64 exec, exec, s[8:9]
	s_lshl_b32 s19, s18, 4
	v_lshlrev_b32_e32 v1, 4, v10
	s_mov_b32 s8, 16
	s_add_i32 s9, s19, 16
	v_add_lshl_u32 v6, v0, s18, 4
	s_mov_b32 s10, 0
	s_waitcnt lgkmcnt(0)
	; wave barrier
	s_waitcnt lgkmcnt(0)
	s_branch .LBB13_29
.LBB13_28:                              ;   in Loop: Header=BB13_29 Depth=1
	s_add_i32 s8, s8, s9
	s_cmp_eq_u32 s10, s18
	v_add_u32_e32 v6, s19, v6
	s_waitcnt lgkmcnt(0)
	; wave barrier
	s_cbranch_scc1 .LBB13_38
.LBB13_29:                              ; =>This Loop Header: Depth=1
                                        ;     Child Loop BB13_34 Depth 2
	v_pk_mov_b32 v[2:3], 0, 0
	s_mul_i32 s11, s10, s18
	v_cmp_lt_u32_e32 vcc, s10, v0
	v_add_lshl_u32 v7, s11, v0, 4
	v_pk_mov_b32 v[4:5], v[2:3], v[2:3] op_sel:[0,1]
	s_and_saveexec_b64 s[2:3], vcc
	s_cbranch_execz .LBB13_31
; %bb.30:                               ;   in Loop: Header=BB13_29 Depth=1
	s_add_i32 s11, s11, s10
	s_lshl_b32 s11, s11, 4
	v_mov_b32_e32 v2, s11
	ds_read_b128 v[2:5], v2
	ds_read_b128 v[8:11], v7
	s_waitcnt lgkmcnt(0)
	v_mul_f64 v[12:13], v[4:5], v[10:11]
	v_mul_f64 v[10:11], v[2:3], v[10:11]
	v_fma_f64 v[2:3], v[2:3], v[8:9], -v[12:13]
	v_fmac_f64_e32 v[10:11], v[4:5], v[8:9]
	v_add_f64 v[2:3], v[2:3], 0
	v_add_f64 v[4:5], v[10:11], 0
.LBB13_31:                              ;   in Loop: Header=BB13_29 Depth=1
	s_or_b64 exec, exec, s[2:3]
	s_add_i32 s10, s10, 1
	s_cmp_ge_i32 s10, s18
	s_waitcnt lgkmcnt(0)
	; wave barrier
	s_cbranch_scc1 .LBB13_28
; %bb.32:                               ;   in Loop: Header=BB13_29 Depth=1
	v_mov_b32_e32 v8, v6
	s_mov_b32 s11, s8
	s_mov_b32 s17, s10
	s_branch .LBB13_34
.LBB13_33:                              ;   in Loop: Header=BB13_34 Depth=2
	s_or_b64 exec, exec, s[2:3]
	s_add_i32 s17, s17, 1
	s_add_i32 s11, s11, 16
	s_cmp_ge_i32 s17, s18
	v_add_u32_e32 v8, s19, v8
	s_waitcnt lgkmcnt(0)
	; wave barrier
	s_cbranch_scc1 .LBB13_28
.LBB13_34:                              ;   Parent Loop BB13_29 Depth=1
                                        ; =>  This Inner Loop Header: Depth=2
	v_cmp_eq_u32_e32 vcc, s17, v0
	s_and_saveexec_b64 s[2:3], vcc
	s_cbranch_execz .LBB13_36
; %bb.35:                               ;   in Loop: Header=BB13_34 Depth=2
	ds_read_b128 v[10:13], v1
	v_add_f64 v[16:17], -v[2:3], 0
	s_waitcnt lgkmcnt(0)
	v_mul_f64 v[14:15], v[4:5], v[12:13]
	v_mul_f64 v[18:19], v[4:5], v[10:11]
	v_fmac_f64_e32 v[14:15], v[16:17], v[10:11]
	v_fma_f64 v[16:17], v[16:17], v[12:13], -v[18:19]
	ds_write_b128 v7, v[14:17]
.LBB13_36:                              ;   in Loop: Header=BB13_34 Depth=2
	s_or_b64 exec, exec, s[2:3]
	v_cmp_lt_u32_e32 vcc, s17, v0
	s_waitcnt lgkmcnt(0)
	; wave barrier
	s_waitcnt lgkmcnt(0)
	s_and_saveexec_b64 s[2:3], vcc
	s_cbranch_execz .LBB13_33
; %bb.37:                               ;   in Loop: Header=BB13_34 Depth=2
	v_mov_b32_e32 v9, s11
	ds_read_b128 v[10:13], v8
	ds_read_b128 v[14:17], v9
	s_waitcnt lgkmcnt(0)
	v_mul_f64 v[18:19], v[16:17], v[12:13]
	v_mul_f64 v[12:13], v[14:15], v[12:13]
	v_fma_f64 v[14:15], v[14:15], v[10:11], -v[18:19]
	v_fmac_f64_e32 v[12:13], v[16:17], v[10:11]
	v_add_f64 v[2:3], v[2:3], v[14:15]
	v_add_f64 v[4:5], v[4:5], v[12:13]
	s_branch .LBB13_33
.LBB13_38:
	s_and_saveexec_b64 s[2:3], s[0:1]
	s_cbranch_execz .LBB13_51
; %bb.39:
	s_load_dwordx4 s[8:11], s[4:5], 0x50
	s_load_dword s0, s[4:5], 0x48
	v_lshlrev_b32_e32 v1, 4, v0
	s_waitcnt lgkmcnt(0)
	s_mul_i32 s1, s7, s9
	s_mul_hi_u32 s3, s7, s8
	s_mul_i32 s4, s6, s11
	s_add_i32 s3, s3, s1
	s_mul_hi_u32 s1, s6, s10
	s_add_i32 s5, s1, s4
	s_mul_i32 s2, s7, s8
	s_mul_i32 s4, s6, s10
	s_mov_b64 s[6:7], -1
	s_cmpk_lg_i32 s16, 0x7a
	s_cbranch_scc0 .LBB13_43
; %bb.40:
	s_add_i32 s10, s18, -1
	s_ashr_i32 s1, s0, 31
	s_lshl_b64 s[6:7], s[4:5], 4
	s_lshl_b64 s[8:9], s[2:3], 4
	s_add_u32 s8, s6, s8
	s_addc_u32 s9, s7, s9
	s_mul_i32 s6, s1, s10
	s_mul_hi_u32 s7, s0, s10
	s_add_i32 s7, s7, s6
	s_mul_i32 s6, s0, s10
	s_lshl_b64 s[6:7], s[6:7], 4
	s_add_u32 s8, s8, s6
	s_addc_u32 s9, s9, s7
	s_lshl_b64 s[6:7], s[14:15], 4
	s_add_u32 s6, s8, s6
	s_addc_u32 s7, s9, s7
	s_add_u32 s6, s12, s6
	s_addc_u32 s7, s13, s7
	s_lshl_b64 s[8:9], s[0:1], 4
	v_lshlrev_b32_e32 v4, 4, v0
	s_sub_u32 s1, 0, s8
	v_mov_b32_e32 v3, s7
	v_add_co_u32_e32 v2, vcc, s6, v4
	s_subb_u32 s8, 0, s9
	v_sub_u32_e32 v4, s19, v4
	v_addc_co_u32_e32 v3, vcc, 0, v3, vcc
	s_mov_b64 s[6:7], 0
	v_add_u32_e32 v4, -16, v4
	v_mov_b32_e32 v5, s8
	s_mov_b32 s8, s18
.LBB13_41:                              ; =>This Inner Loop Header: Depth=1
	ds_read2_b64 v[6:9], v4 offset1:1
	s_add_i32 s8, s8, -1
	v_cmp_le_i32_e32 vcc, s8, v0
	s_or_b64 s[6:7], vcc, s[6:7]
	v_add_u32_e32 v4, s19, v4
	s_waitcnt lgkmcnt(0)
	global_store_dwordx4 v[2:3], v[6:9], off
	v_add_co_u32_e32 v2, vcc, s1, v2
	v_addc_co_u32_e32 v3, vcc, v3, v5, vcc
	s_andn2_b64 exec, exec, s[6:7]
	s_cbranch_execnz .LBB13_41
; %bb.42:
	s_or_b64 exec, exec, s[6:7]
	s_mov_b64 s[6:7], 0
.LBB13_43:
	s_and_b64 vcc, exec, s[6:7]
	s_cbranch_vccz .LBB13_51
; %bb.44:
	v_mov_b32_e32 v4, 0
	s_ashr_i32 s1, s0, 31
	v_add_u32_e32 v5, 1, v0
	v_cmp_lt_u32_e32 vcc, 2, v0
	s_and_saveexec_b64 s[6:7], vcc
	s_cbranch_execz .LBB13_48
; %bb.45:
	s_lshl_b64 s[8:9], s[2:3], 4
	s_add_u32 s10, s12, s8
	s_addc_u32 s11, s13, s9
	s_lshl_b64 s[8:9], s[14:15], 4
	s_add_u32 s10, s10, s8
	s_addc_u32 s11, s11, s9
	;; [unrolled: 3-line block ×3, first 2 shown]
	v_mov_b32_e32 v3, s9
	v_add_co_u32_e32 v2, vcc, s8, v1
	s_mul_hi_i32 s27, s0, 48
	s_lshl_b64 s[8:9], s[0:1], 6
	s_lshl_b64 s[10:11], s[0:1], 5
	s_lshl_b64 s[16:17], s[0:1], 4
	v_addc_co_u32_e32 v3, vcc, 0, v3, vcc
	v_and_b32_e32 v4, 28, v5
	s_mul_i32 s22, s0, 48
	s_lshl_b32 s23, s18, 6
	s_lshl_b32 s24, s18, 5
	s_mul_i32 s25, s18, 48
	s_mov_b32 s26, 0
	s_mov_b64 s[20:21], 0
	v_mov_b32_e32 v6, s17
	v_mov_b32_e32 v7, s11
	;; [unrolled: 1-line block ×5, first 2 shown]
.LBB13_46:                              ; =>This Inner Loop Header: Depth=1
	v_add_co_u32_e32 v28, vcc, s16, v2
	v_addc_co_u32_e32 v29, vcc, v3, v6, vcc
	ds_read2_b64 v[12:15], v10 offset1:1
	v_add_co_u32_e32 v30, vcc, s10, v2
	v_add_u32_e32 v11, s19, v10
	v_add_u32_e32 v20, s24, v10
	v_addc_co_u32_e32 v31, vcc, v3, v7, vcc
	v_add_u32_e32 v24, s25, v10
	v_add_co_u32_e32 v32, vcc, s22, v2
	ds_read2_b64 v[16:19], v11 offset1:1
	ds_read2_b64 v[20:23], v20 offset1:1
	;; [unrolled: 1-line block ×3, first 2 shown]
	v_addc_co_u32_e32 v33, vcc, v3, v8, vcc
	s_add_i32 s26, s26, 4
	v_cmp_eq_u32_e32 vcc, s26, v4
	s_or_b64 s[20:21], vcc, s[20:21]
	s_waitcnt lgkmcnt(3)
	global_store_dwordx4 v[2:3], v[12:15], off
	v_add_co_u32_e32 v2, vcc, s8, v2
	v_add_u32_e32 v10, s23, v10
	v_addc_co_u32_e32 v3, vcc, v3, v9, vcc
	s_waitcnt lgkmcnt(2)
	global_store_dwordx4 v[28:29], v[16:19], off
	s_waitcnt lgkmcnt(1)
	global_store_dwordx4 v[30:31], v[20:23], off
	;; [unrolled: 2-line block ×3, first 2 shown]
	s_andn2_b64 exec, exec, s[20:21]
	s_cbranch_execnz .LBB13_46
; %bb.47:
	s_or_b64 exec, exec, s[20:21]
.LBB13_48:
	s_or_b64 exec, exec, s[6:7]
	v_and_b32_e32 v5, 3, v5
	v_cmp_ne_u32_e32 vcc, 0, v5
	s_and_b64 exec, exec, vcc
	s_cbranch_execz .LBB13_51
; %bb.49:
	s_lshl_b64 s[4:5], s[4:5], 4
	s_lshl_b64 s[2:3], s[2:3], 4
	s_add_u32 s4, s4, s2
	s_addc_u32 s5, s5, s3
	v_mad_i64_i32 v[2:3], s[2:3], s0, v4, 0
	s_lshl_b64 s[2:3], s[14:15], 4
	s_add_u32 s2, s2, s4
	v_lshlrev_b64 v[2:3], 4, v[2:3]
	s_addc_u32 s3, s3, s5
	v_mov_b32_e32 v6, s3
	v_add_co_u32_e32 v2, vcc, s2, v2
	v_addc_co_u32_e32 v3, vcc, v6, v3, vcc
	v_add_co_u32_e32 v1, vcc, v2, v1
	v_addc_co_u32_e32 v3, vcc, 0, v3, vcc
	v_mov_b32_e32 v6, s13
	v_add_co_u32_e32 v2, vcc, s12, v1
	s_lshl_b64 s[0:1], s[0:1], 4
	v_mul_lo_u32 v1, v4, s18
	v_addc_co_u32_e32 v3, vcc, v6, v3, vcc
	v_add_lshl_u32 v0, v0, v1, 4
	s_mov_b64 s[2:3], 0
	v_mov_b32_e32 v1, s1
.LBB13_50:                              ; =>This Inner Loop Header: Depth=1
	ds_read2_b64 v[6:9], v0 offset1:1
	v_add_u32_e32 v5, -1, v5
	v_cmp_eq_u32_e32 vcc, 0, v5
	s_or_b64 s[2:3], vcc, s[2:3]
	v_add_u32_e32 v0, s19, v0
	s_waitcnt lgkmcnt(0)
	global_store_dwordx4 v[2:3], v[6:9], off
	v_add_co_u32_e32 v2, vcc, s0, v2
	v_addc_co_u32_e32 v3, vcc, v3, v1, vcc
	s_andn2_b64 exec, exec, s[2:3]
	s_cbranch_execnz .LBB13_50
.LBB13_51:
	s_endpgm
	.section	.rodata,"a",@progbits
	.p2align	6, 0x0
	.amdhsa_kernel _ZL26rocblas_trtri_small_kernelILi16E19rocblas_complex_numIdEPKS1_PS1_Ev13rocblas_fill_17rocblas_diagonal_iT1_lillT2_lilli
		.amdhsa_group_segment_fixed_size 4096
		.amdhsa_private_segment_fixed_size 0
		.amdhsa_kernarg_size 100
		.amdhsa_user_sgpr_count 6
		.amdhsa_user_sgpr_private_segment_buffer 1
		.amdhsa_user_sgpr_dispatch_ptr 0
		.amdhsa_user_sgpr_queue_ptr 0
		.amdhsa_user_sgpr_kernarg_segment_ptr 1
		.amdhsa_user_sgpr_dispatch_id 0
		.amdhsa_user_sgpr_flat_scratch_init 0
		.amdhsa_user_sgpr_kernarg_preload_length 0
		.amdhsa_user_sgpr_kernarg_preload_offset 0
		.amdhsa_user_sgpr_private_segment_size 0
		.amdhsa_uses_dynamic_stack 0
		.amdhsa_system_sgpr_private_segment_wavefront_offset 0
		.amdhsa_system_sgpr_workgroup_id_x 1
		.amdhsa_system_sgpr_workgroup_id_y 0
		.amdhsa_system_sgpr_workgroup_id_z 1
		.amdhsa_system_sgpr_workgroup_info 0
		.amdhsa_system_vgpr_workitem_id 0
		.amdhsa_next_free_vgpr 34
		.amdhsa_next_free_sgpr 45
		.amdhsa_accum_offset 36
		.amdhsa_reserve_vcc 1
		.amdhsa_reserve_flat_scratch 0
		.amdhsa_float_round_mode_32 0
		.amdhsa_float_round_mode_16_64 0
		.amdhsa_float_denorm_mode_32 3
		.amdhsa_float_denorm_mode_16_64 3
		.amdhsa_dx10_clamp 1
		.amdhsa_ieee_mode 1
		.amdhsa_fp16_overflow 0
		.amdhsa_tg_split 0
		.amdhsa_exception_fp_ieee_invalid_op 0
		.amdhsa_exception_fp_denorm_src 0
		.amdhsa_exception_fp_ieee_div_zero 0
		.amdhsa_exception_fp_ieee_overflow 0
		.amdhsa_exception_fp_ieee_underflow 0
		.amdhsa_exception_fp_ieee_inexact 0
		.amdhsa_exception_int_div_zero 0
	.end_amdhsa_kernel
	.section	.text._ZL26rocblas_trtri_small_kernelILi16E19rocblas_complex_numIdEPKS1_PS1_Ev13rocblas_fill_17rocblas_diagonal_iT1_lillT2_lilli,"axG",@progbits,_ZL26rocblas_trtri_small_kernelILi16E19rocblas_complex_numIdEPKS1_PS1_Ev13rocblas_fill_17rocblas_diagonal_iT1_lillT2_lilli,comdat
.Lfunc_end13:
	.size	_ZL26rocblas_trtri_small_kernelILi16E19rocblas_complex_numIdEPKS1_PS1_Ev13rocblas_fill_17rocblas_diagonal_iT1_lillT2_lilli, .Lfunc_end13-_ZL26rocblas_trtri_small_kernelILi16E19rocblas_complex_numIdEPKS1_PS1_Ev13rocblas_fill_17rocblas_diagonal_iT1_lillT2_lilli
                                        ; -- End function
	.section	.AMDGPU.csdata,"",@progbits
; Kernel info:
; codeLenInByte = 2504
; NumSgprs: 49
; NumVgprs: 34
; NumAgprs: 0
; TotalNumVgprs: 34
; ScratchSize: 0
; MemoryBound: 0
; FloatMode: 240
; IeeeMode: 1
; LDSByteSize: 4096 bytes/workgroup (compile time only)
; SGPRBlocks: 6
; VGPRBlocks: 4
; NumSGPRsForWavesPerEU: 49
; NumVGPRsForWavesPerEU: 34
; AccumOffset: 36
; Occupancy: 4
; WaveLimiterHint : 0
; COMPUTE_PGM_RSRC2:SCRATCH_EN: 0
; COMPUTE_PGM_RSRC2:USER_SGPR: 6
; COMPUTE_PGM_RSRC2:TRAP_HANDLER: 0
; COMPUTE_PGM_RSRC2:TGID_X_EN: 1
; COMPUTE_PGM_RSRC2:TGID_Y_EN: 0
; COMPUTE_PGM_RSRC2:TGID_Z_EN: 1
; COMPUTE_PGM_RSRC2:TIDIG_COMP_CNT: 0
; COMPUTE_PGM_RSRC3_GFX90A:ACCUM_OFFSET: 8
; COMPUTE_PGM_RSRC3_GFX90A:TG_SPLIT: 0
	.section	.text._ZL29rocblas_trtri_diagonal_kernelILi16E19rocblas_complex_numIdEPKS1_PS1_Ev13rocblas_fill_17rocblas_diagonal_iT1_lillT2_lilli,"axG",@progbits,_ZL29rocblas_trtri_diagonal_kernelILi16E19rocblas_complex_numIdEPKS1_PS1_Ev13rocblas_fill_17rocblas_diagonal_iT1_lillT2_lilli,comdat
	.globl	_ZL29rocblas_trtri_diagonal_kernelILi16E19rocblas_complex_numIdEPKS1_PS1_Ev13rocblas_fill_17rocblas_diagonal_iT1_lillT2_lilli ; -- Begin function _ZL29rocblas_trtri_diagonal_kernelILi16E19rocblas_complex_numIdEPKS1_PS1_Ev13rocblas_fill_17rocblas_diagonal_iT1_lillT2_lilli
	.p2align	8
	.type	_ZL29rocblas_trtri_diagonal_kernelILi16E19rocblas_complex_numIdEPKS1_PS1_Ev13rocblas_fill_17rocblas_diagonal_iT1_lillT2_lilli,@function
_ZL29rocblas_trtri_diagonal_kernelILi16E19rocblas_complex_numIdEPKS1_PS1_Ev13rocblas_fill_17rocblas_diagonal_iT1_lillT2_lilli: ; @_ZL29rocblas_trtri_diagonal_kernelILi16E19rocblas_complex_numIdEPKS1_PS1_Ev13rocblas_fill_17rocblas_diagonal_iT1_lillT2_lilli
; %bb.0:
	s_load_dwordx4 s[20:23], s[4:5], 0x0
	s_waitcnt lgkmcnt(0)
	s_ashr_i32 s0, s22, 31
	s_lshr_b32 s0, s0, 27
	s_add_i32 s0, s22, s0
	s_ashr_i32 s0, s0, 5
	v_cvt_f32_u32_e32 v1, s0
	s_sub_i32 s1, 0, s0
	v_rcp_iflag_f32_e32 v1, v1
	v_mul_f32_e32 v1, 0x4f7ffffe, v1
	v_cvt_u32_f32_e32 v1, v1
	v_readfirstlane_b32 s2, v1
	s_mul_i32 s1, s1, s2
	s_mul_hi_u32 s1, s2, s1
	s_add_i32 s2, s2, s1
	s_mul_hi_u32 s1, s6, s2
	s_mul_i32 s2, s1, s0
	s_sub_i32 s2, s6, s2
	s_add_i32 s3, s1, 1
	s_sub_i32 s8, s2, s0
	s_cmp_ge_u32 s2, s0
	s_cselect_b32 s1, s3, s1
	s_cselect_b32 s2, s8, s2
	s_add_i32 s3, s1, 1
	s_cmp_ge_u32 s2, s0
	s_cselect_b32 s35, s3, s1
	s_mul_i32 s0, s35, s0
	s_sub_i32 s36, s6, s0
	s_lshl_b32 s0, s36, 4
	s_cmp_eq_u32 s22, s0
	s_cbranch_scc1 .LBB14_108
; %bb.1:
	s_sub_i32 s34, s22, s0
	s_min_u32 s33, s34, 16
	s_lshl_b32 s6, s33, 1
	v_cmp_gt_u32_e64 s[8:9], s33, v0
	v_cmp_le_u32_e64 s[0:1], s33, v0
	v_cmp_gt_u32_e64 s[2:3], s6, v0
	v_cmp_le_u32_e32 vcc, s6, v0
	v_mov_b32_e32 v10, v0
	s_and_saveexec_b64 s[10:11], s[0:1]
	s_cbranch_execz .LBB14_7
; %bb.2:
                                        ; implicit-def: $vgpr10
	s_and_saveexec_b64 s[12:13], vcc
	s_xor_b64 s[12:13], exec, s[12:13]
; %bb.3:
	v_subrev_u32_e32 v10, s6, v0
; %bb.4:
	s_andn2_saveexec_b64 s[12:13], s[12:13]
; %bb.5:
	v_subrev_u32_e32 v10, s33, v0
; %bb.6:
	s_or_b64 exec, exec, s[12:13]
.LBB14_7:
	s_or_b64 exec, exec, s[10:11]
	s_load_dwordx4 s[24:27], s[4:5], 0x10
	s_load_dword s10, s[4:5], 0x20
	s_load_dwordx8 s[12:19], s[4:5], 0x28
	v_mov_b32_e32 v1, 0x3000
	v_cndmask_b32_e64 v1, 0, v1, s[2:3]
	v_mov_b32_e32 v2, 0x2000
	v_cndmask_b32_e64 v12, v1, v2, s[8:9]
	s_waitcnt lgkmcnt(0)
	s_ashr_i32 s11, s10, 31
	s_mul_i32 s6, s7, s13
	s_mul_hi_u32 s8, s7, s12
	s_add_i32 s9, s8, s6
	s_mul_i32 s8, s7, s12
	s_lshl_b64 s[12:13], s[10:11], 5
	s_add_u32 s6, s12, 32
	s_addc_u32 s12, s13, 0
	s_mul_i32 s12, s12, s36
	s_mul_hi_u32 s13, s6, s36
	s_add_i32 s13, s13, s12
	s_mul_i32 s12, s6, s36
	s_mul_i32 s6, s35, s15
	s_mul_hi_u32 s15, s35, s14
	s_add_i32 s15, s15, s6
	s_mul_i32 s14, s35, s14
	s_and_saveexec_b64 s[22:23], vcc
	s_xor_b64 s[22:23], exec, s[22:23]
	s_cbranch_execz .LBB14_17
; %bb.8:
	s_mul_i32 s6, s33, 3
	v_cmp_gt_u32_e32 vcc, s6, v0
	s_and_saveexec_b64 s[28:29], vcc
	s_cbranch_execz .LBB14_16
; %bb.9:
	s_cmpk_eq_i32 s20, 0x7a
	s_mov_b64 s[30:31], -1
	s_cbranch_scc1 .LBB14_13
; %bb.10:
	s_add_i32 s38, s33, -1
	s_mul_i32 s30, s33, s38
	s_lshl_b32 s30, s30, 4
	v_lshlrev_b32_e32 v1, 4, v10
	s_lshl_b32 s31, s33, 4
	s_add_i32 s6, s33, 1
	v_add3_u32 v1, s30, v1, v12
	s_sub_i32 s30, 0, s31
	s_lshl_b64 s[40:41], s[14:15], 4
	s_lshl_b64 s[42:43], s[8:9], 4
	s_add_u32 s37, s40, s42
	s_addc_u32 s42, s41, s43
	s_lshl_b64 s[40:41], s[12:13], 4
	s_mov_b32 s39, 0
	s_add_u32 s37, s37, s40
	s_addc_u32 s40, s42, s41
	s_lshl_b64 s[38:39], s[38:39], 4
	s_add_u32 s31, s31, s38
	s_addc_u32 s38, 0, s39
	s_mul_i32 s39, s31, s11
	s_mul_hi_u32 s41, s31, s10
	s_add_i32 s39, s41, s39
	s_mul_i32 s38, s38, s10
	s_add_i32 s39, s39, s38
	s_mul_i32 s31, s31, s10
	s_add_u32 s31, s37, s31
	s_addc_u32 s37, s40, s39
	s_lshl_b64 s[38:39], s[26:27], 4
	s_add_u32 s31, s31, s38
	s_addc_u32 s37, s37, s39
	v_ashrrev_i32_e32 v11, 31, v10
	s_add_u32 s31, s24, s31
	v_lshlrev_b64 v[2:3], 4, v[10:11]
	s_addc_u32 s37, s25, s37
	s_lshl_b64 s[38:39], s[10:11], 4
	v_add_co_u32_e32 v2, vcc, s31, v2
	s_sub_u32 s31, 0, s38
	v_mov_b32_e32 v4, s37
	s_subb_u32 s37, 0, s39
	v_addc_co_u32_e32 v3, vcc, v4, v3, vcc
	v_mov_b32_e32 v4, s37
.LBB14_11:                              ; =>This Inner Loop Header: Depth=1
	global_load_dwordx4 v[6:9], v[2:3], off
	s_add_i32 s6, s6, -1
	v_add_co_u32_e32 v2, vcc, s31, v2
	v_addc_co_u32_e32 v3, vcc, v3, v4, vcc
	s_cmp_gt_u32 s6, 1
	s_waitcnt vmcnt(0)
	ds_write2_b64 v1, v[6:7], v[8:9] offset1:1
	v_add_u32_e32 v1, s30, v1
	s_cbranch_scc1 .LBB14_11
; %bb.12:
	s_mov_b64 s[30:31], 0
.LBB14_13:
	s_and_b64 vcc, exec, s[30:31]
	s_cbranch_vccz .LBB14_16
; %bb.14:
	s_lshl_b64 s[30:31], s[8:9], 4
	s_add_u32 s6, s24, s30
	s_addc_u32 s37, s25, s31
	s_lshl_b64 s[30:31], s[26:27], 4
	s_add_u32 s6, s6, s30
	s_addc_u32 s37, s37, s31
	;; [unrolled: 3-line block ×3, first 2 shown]
	s_lshl_b64 s[30:31], s[14:15], 4
	v_add_u32_e32 v2, s33, v10
	s_add_u32 s6, s6, s30
	v_ashrrev_i32_e32 v3, 31, v2
	s_addc_u32 s30, s37, s31
	v_lshlrev_b64 v[2:3], 4, v[2:3]
	v_mov_b32_e32 v1, s30
	v_add_co_u32_e32 v2, vcc, s6, v2
	s_lshl_b64 s[30:31], s[10:11], 4
	v_addc_co_u32_e32 v3, vcc, v1, v3, vcc
	v_lshl_add_u32 v1, v10, 4, v12
	s_lshl_b32 s6, s33, 4
	v_mov_b32_e32 v4, s31
	s_mov_b32 s31, s33
.LBB14_15:                              ; =>This Inner Loop Header: Depth=1
	global_load_dwordx4 v[6:9], v[2:3], off
	s_add_i32 s31, s31, -1
	v_add_co_u32_e32 v2, vcc, s30, v2
	v_addc_co_u32_e32 v3, vcc, v3, v4, vcc
	s_cmp_eq_u32 s31, 0
	s_waitcnt vmcnt(0)
	ds_write2_b64 v1, v[6:7], v[8:9] offset1:1
	v_add_u32_e32 v1, s6, v1
	s_cbranch_scc0 .LBB14_15
.LBB14_16:
	s_or_b64 exec, exec, s[28:29]
.LBB14_17:
	s_andn2_saveexec_b64 s[22:23], s[22:23]
	s_cbranch_execz .LBB14_31
; %bb.18:
	v_pk_mov_b32 v[2:3], 0, 0
	s_and_saveexec_b64 s[28:29], s[0:1]
; %bb.19:
	s_add_u32 s6, s10, 1
	s_addc_u32 s30, s11, 0
	s_mul_i32 s30, s30, s33
	s_mul_hi_u32 s31, s6, s33
	s_add_i32 s31, s31, s30
	s_mul_i32 s30, s6, s33
	v_pk_mov_b32 v[2:3], s[30:31], s[30:31] op_sel:[0,1]
; %bb.20:
	s_or_b64 exec, exec, s[28:29]
	s_mov_b64 s[28:29], -1
	s_cmpk_lg_i32 s20, 0x7a
	v_lshlrev_b64 v[6:7], 4, v[2:3]
	s_cbranch_scc0 .LBB14_26
; %bb.21:
	s_add_i32 s6, s33, -1
	s_lshl_b32 s30, s33, 4
	s_lshl_b64 s[28:29], s[14:15], 4
	s_lshl_b64 s[38:39], s[8:9], 4
	s_add_u32 s31, s28, s38
	s_addc_u32 s37, s29, s39
	s_lshl_b64 s[28:29], s[12:13], 4
	s_add_u32 s31, s31, s28
	s_addc_u32 s37, s37, s29
	s_mul_i32 s28, s11, s6
	s_mul_hi_u32 s29, s10, s6
	s_add_i32 s29, s29, s28
	s_mul_i32 s28, s10, s6
	s_lshl_b64 s[28:29], s[28:29], 4
	s_add_u32 s31, s31, s28
	s_addc_u32 s37, s37, s29
	s_lshl_b64 s[28:29], s[26:27], 4
	s_add_u32 s28, s28, s31
	s_addc_u32 s29, s29, s37
	v_ashrrev_i32_e32 v11, 31, v10
	v_mov_b32_e32 v2, s29
	v_add_co_u32_e32 v4, vcc, s28, v6
	v_addc_co_u32_e32 v5, vcc, v2, v7, vcc
	v_lshlrev_b64 v[2:3], 4, v[10:11]
	v_add_co_u32_e32 v2, vcc, v4, v2
	v_addc_co_u32_e32 v3, vcc, v5, v3, vcc
	v_mov_b32_e32 v4, s25
	v_add_co_u32_e32 v2, vcc, s24, v2
	s_lshl_b64 s[28:29], s[10:11], 4
	v_addc_co_u32_e32 v3, vcc, v3, v4, vcc
	s_sub_u32 s31, 0, s28
	v_sub_u32_e32 v1, s6, v10
	v_add_co_u32_e32 v8, vcc, 8, v2
	s_subb_u32 s28, 0, s29
	v_lshl_add_u32 v1, v1, 4, v12
	v_addc_co_u32_e32 v9, vcc, 0, v3, vcc
	v_mov_b32_e32 v11, s28
	s_branch .LBB14_23
.LBB14_22:                              ;   in Loop: Header=BB14_23 Depth=1
	s_or_b64 exec, exec, s[28:29]
	s_add_i32 s6, s6, -1
	v_add_co_u32_e32 v8, vcc, s31, v8
	s_waitcnt vmcnt(0)
	ds_write_b128 v1, v[2:5]
	v_add_u32_e32 v1, s30, v1
	s_cmp_eq_u32 s6, -1
	v_addc_co_u32_e32 v9, vcc, v9, v11, vcc
	s_cbranch_scc1 .LBB14_25
.LBB14_23:                              ; =>This Inner Loop Header: Depth=1
	v_pk_mov_b32 v[2:3], 0, 0
	v_cmp_ge_i32_e32 vcc, s6, v10
	v_pk_mov_b32 v[4:5], v[2:3], v[2:3] op_sel:[0,1]
	s_and_saveexec_b64 s[28:29], vcc
	s_cbranch_execz .LBB14_22
; %bb.24:                               ;   in Loop: Header=BB14_23 Depth=1
	global_load_dwordx4 v[2:5], v[8:9], off offset:-8
	s_branch .LBB14_22
.LBB14_25:
	s_mov_b64 s[28:29], 0
.LBB14_26:
	s_and_b64 vcc, exec, s[28:29]
	s_cbranch_vccz .LBB14_31
; %bb.27:
	s_lshl_b32 s6, s33, 4
	s_lshl_b64 s[14:15], s[14:15], 4
	s_lshl_b64 s[8:9], s[8:9], 4
	s_add_u32 s14, s14, s8
	s_addc_u32 s15, s15, s9
	s_lshl_b64 s[8:9], s[12:13], 4
	s_add_u32 s12, s14, s8
	s_addc_u32 s13, s15, s9
	;; [unrolled: 3-line block ×3, first 2 shown]
	v_ashrrev_i32_e32 v11, 31, v10
	v_mov_b32_e32 v2, s9
	v_add_co_u32_e32 v4, vcc, s8, v6
	v_addc_co_u32_e32 v5, vcc, v2, v7, vcc
	v_lshlrev_b64 v[2:3], 4, v[10:11]
	v_add_co_u32_e32 v2, vcc, v4, v2
	v_addc_co_u32_e32 v3, vcc, v5, v3, vcc
	v_mov_b32_e32 v4, s25
	v_add_co_u32_e32 v2, vcc, s24, v2
	v_addc_co_u32_e32 v3, vcc, v3, v4, vcc
	v_add_co_u32_e32 v6, vcc, 8, v2
	s_lshl_b64 s[8:9], s[10:11], 4
	v_lshl_add_u32 v1, v10, 4, v12
	v_addc_co_u32_e32 v7, vcc, 0, v3, vcc
	s_mov_b32 s12, 0
	v_mov_b32_e32 v8, s9
	s_branch .LBB14_29
.LBB14_28:                              ;   in Loop: Header=BB14_29 Depth=1
	s_or_b64 exec, exec, s[10:11]
	s_add_i32 s12, s12, 1
	v_add_co_u32_e32 v6, vcc, s8, v6
	s_waitcnt vmcnt(0)
	ds_write_b128 v1, v[2:5]
	v_add_u32_e32 v1, s6, v1
	s_cmp_eq_u32 s33, s12
	v_addc_co_u32_e32 v7, vcc, v7, v8, vcc
	s_cbranch_scc1 .LBB14_31
.LBB14_29:                              ; =>This Inner Loop Header: Depth=1
	v_pk_mov_b32 v[2:3], 0, 0
	v_cmp_le_i32_e32 vcc, s12, v10
	v_pk_mov_b32 v[4:5], v[2:3], v[2:3] op_sel:[0,1]
	s_and_saveexec_b64 s[10:11], vcc
	s_cbranch_execz .LBB14_28
; %bb.30:                               ;   in Loop: Header=BB14_29 Depth=1
	global_load_dwordx4 v[2:5], v[6:7], off offset:-8
	s_branch .LBB14_28
.LBB14_31:
	s_or_b64 exec, exec, s[22:23]
	s_waitcnt lgkmcnt(0)
	s_barrier
	s_and_saveexec_b64 s[10:11], s[2:3]
	s_cbranch_execz .LBB14_42
; %bb.32:
	s_add_i32 s6, s33, 1
	v_mul_i32_i24_e32 v1, s6, v10
	s_cmpk_eq_i32 s21, 0x84
	v_lshl_add_u32 v1, v1, 4, v12
	s_cbranch_scc1 .LBB14_40
; %bb.33:
	ds_read_b128 v[2:5], v1
	v_mov_b32_e32 v6, 0
	v_pk_mov_b32 v[8:9], 0, 0
	v_mov_b32_e32 v7, 0x3ff00000
	s_waitcnt lgkmcnt(0)
	v_cmp_neq_f64_e32 vcc, 0, v[2:3]
	v_cmp_neq_f64_e64 s[8:9], 0, v[4:5]
	s_or_b64 s[12:13], vcc, s[8:9]
	s_and_saveexec_b64 s[8:9], s[12:13]
	s_cbranch_execz .LBB14_39
; %bb.34:
	v_xor_b32_e32 v6, 0x80000000, v3
	v_cmp_gt_f64_e32 vcc, 0, v[2:3]
	v_cndmask_b32_e32 v7, v3, v6, vcc
	v_cndmask_b32_e32 v6, v2, v2, vcc
	v_xor_b32_e32 v8, 0x80000000, v5
	v_cmp_gt_f64_e32 vcc, 0, v[4:5]
	v_cndmask_b32_e32 v9, v5, v8, vcc
	v_cndmask_b32_e32 v8, v4, v4, vcc
	v_cmp_ngt_f64_e32 vcc, v[6:7], v[8:9]
                                        ; implicit-def: $vgpr8_vgpr9
	s_and_saveexec_b64 s[12:13], vcc
	s_xor_b64 s[12:13], exec, s[12:13]
	s_cbranch_execz .LBB14_36
; %bb.35:
	v_div_scale_f64 v[6:7], s[14:15], v[4:5], v[4:5], v[2:3]
	v_rcp_f64_e32 v[8:9], v[6:7]
	v_div_scale_f64 v[14:15], vcc, v[2:3], v[4:5], v[2:3]
	v_fma_f64 v[16:17], -v[6:7], v[8:9], 1.0
	v_fmac_f64_e32 v[8:9], v[8:9], v[16:17]
	v_fma_f64 v[16:17], -v[6:7], v[8:9], 1.0
	v_fmac_f64_e32 v[8:9], v[8:9], v[16:17]
	v_mul_f64 v[16:17], v[14:15], v[8:9]
	v_fma_f64 v[6:7], -v[6:7], v[16:17], v[14:15]
	v_div_fmas_f64 v[6:7], v[6:7], v[8:9], v[16:17]
	v_div_fixup_f64 v[6:7], v[6:7], v[4:5], v[2:3]
	v_fmac_f64_e32 v[4:5], v[2:3], v[6:7]
	v_div_scale_f64 v[2:3], s[14:15], v[4:5], v[4:5], 1.0
	v_rcp_f64_e32 v[8:9], v[2:3]
	v_fma_f64 v[14:15], -v[2:3], v[8:9], 1.0
	v_fmac_f64_e32 v[8:9], v[8:9], v[14:15]
	v_fma_f64 v[14:15], -v[2:3], v[8:9], 1.0
	v_fmac_f64_e32 v[8:9], v[8:9], v[14:15]
	v_div_scale_f64 v[14:15], vcc, 1.0, v[4:5], 1.0
	v_mul_f64 v[16:17], v[14:15], v[8:9]
	v_fma_f64 v[2:3], -v[2:3], v[16:17], v[14:15]
	s_nop 1
	v_div_fmas_f64 v[2:3], v[2:3], v[8:9], v[16:17]
	v_div_fixup_f64 v[8:9], v[2:3], v[4:5], 1.0
	v_mul_f64 v[6:7], v[6:7], v[8:9]
	v_xor_b32_e32 v9, 0x80000000, v9
                                        ; implicit-def: $vgpr2_vgpr3
.LBB14_36:
	s_andn2_saveexec_b64 s[12:13], s[12:13]
	s_cbranch_execz .LBB14_38
; %bb.37:
	v_div_scale_f64 v[6:7], s[14:15], v[2:3], v[2:3], v[4:5]
	v_rcp_f64_e32 v[8:9], v[6:7]
	v_div_scale_f64 v[14:15], vcc, v[4:5], v[2:3], v[4:5]
	v_fma_f64 v[16:17], -v[6:7], v[8:9], 1.0
	v_fmac_f64_e32 v[8:9], v[8:9], v[16:17]
	v_fma_f64 v[16:17], -v[6:7], v[8:9], 1.0
	v_fmac_f64_e32 v[8:9], v[8:9], v[16:17]
	v_mul_f64 v[16:17], v[14:15], v[8:9]
	v_fma_f64 v[6:7], -v[6:7], v[16:17], v[14:15]
	v_div_fmas_f64 v[6:7], v[6:7], v[8:9], v[16:17]
	v_div_fixup_f64 v[8:9], v[6:7], v[2:3], v[4:5]
	v_fmac_f64_e32 v[2:3], v[4:5], v[8:9]
	v_div_scale_f64 v[4:5], s[14:15], v[2:3], v[2:3], 1.0
	v_rcp_f64_e32 v[6:7], v[4:5]
	v_fma_f64 v[14:15], -v[4:5], v[6:7], 1.0
	v_fmac_f64_e32 v[6:7], v[6:7], v[14:15]
	v_fma_f64 v[14:15], -v[4:5], v[6:7], 1.0
	v_fmac_f64_e32 v[6:7], v[6:7], v[14:15]
	v_div_scale_f64 v[14:15], vcc, 1.0, v[2:3], 1.0
	v_mul_f64 v[16:17], v[14:15], v[6:7]
	v_fma_f64 v[4:5], -v[4:5], v[16:17], v[14:15]
	s_nop 1
	v_div_fmas_f64 v[4:5], v[4:5], v[6:7], v[16:17]
	v_div_fixup_f64 v[6:7], v[4:5], v[2:3], 1.0
	v_mul_f64 v[8:9], v[8:9], -v[6:7]
.LBB14_38:
	s_or_b64 exec, exec, s[12:13]
.LBB14_39:
	s_or_b64 exec, exec, s[8:9]
	s_branch .LBB14_41
.LBB14_40:
	v_mov_b32_e32 v6, 0
	v_mov_b32_e32 v7, 0x3ff00000
	v_pk_mov_b32 v[8:9], 0, 0
.LBB14_41:
	ds_write_b128 v1, v[6:9]
.LBB14_42:
	s_or_b64 exec, exec, s[10:11]
	s_waitcnt lgkmcnt(0)
	s_barrier
	s_and_saveexec_b64 s[8:9], s[2:3]
	s_cbranch_execz .LBB14_54
; %bb.43:
	s_add_i32 s6, s33, 1
	v_lshlrev_b32_e32 v2, 4, v10
	v_mul_i32_i24_e32 v3, s6, v10
	s_lshl_b32 s6, s33, 4
	v_add_u32_e32 v1, v12, v2
	v_lshl_add_u32 v6, v3, 4, v12
	v_add_u32_e32 v7, 16, v12
	s_add_i32 s12, s6, 16
	v_add3_u32 v8, v2, s6, v12
	s_mov_b32 s13, 0
	s_branch .LBB14_45
.LBB14_44:                              ;   in Loop: Header=BB14_45 Depth=1
	v_add_u32_e32 v7, s12, v7
	s_cmp_eq_u32 s13, s33
	v_add_u32_e32 v8, s6, v8
	s_cbranch_scc1 .LBB14_54
.LBB14_45:                              ; =>This Loop Header: Depth=1
                                        ;     Child Loop BB14_50 Depth 2
	v_pk_mov_b32 v[2:3], 0, 0
	v_cmp_lt_i32_e32 vcc, s13, v10
	s_mul_i32 s14, s13, s33
	v_pk_mov_b32 v[4:5], v[2:3], v[2:3] op_sel:[0,1]
	s_and_saveexec_b64 s[10:11], vcc
	s_cbranch_execz .LBB14_47
; %bb.46:                               ;   in Loop: Header=BB14_45 Depth=1
	s_lshl_b32 s15, s14, 4
	s_lshl_b32 s21, s13, 4
	v_add_u32_e32 v9, s15, v1
	s_add_i32 s15, s15, s21
	v_add_u32_e32 v2, s15, v12
	ds_read_b128 v[2:5], v2
	ds_read_b128 v[14:17], v9
	s_waitcnt lgkmcnt(0)
	v_mul_f64 v[18:19], v[4:5], v[16:17]
	v_mul_f64 v[16:17], v[2:3], v[16:17]
	v_fma_f64 v[2:3], v[2:3], v[14:15], -v[18:19]
	v_fmac_f64_e32 v[16:17], v[4:5], v[14:15]
	v_add_f64 v[2:3], v[2:3], 0
	v_add_f64 v[4:5], v[16:17], 0
.LBB14_47:                              ;   in Loop: Header=BB14_45 Depth=1
	s_or_b64 exec, exec, s[10:11]
	s_add_i32 s13, s13, 1
	s_cmp_ge_u32 s13, s33
	s_cbranch_scc1 .LBB14_44
; %bb.48:                               ;   in Loop: Header=BB14_45 Depth=1
	v_lshl_add_u32 v9, s14, 4, v1
	v_mov_b32_e32 v11, v8
	v_mov_b32_e32 v13, v7
	s_mov_b32 s14, s13
	s_branch .LBB14_50
.LBB14_49:                              ;   in Loop: Header=BB14_50 Depth=2
	s_or_b64 exec, exec, s[10:11]
	s_add_i32 s14, s14, 1
	v_add_u32_e32 v13, 16, v13
	s_cmp_ge_u32 s14, s33
	v_add_u32_e32 v11, s6, v11
	s_cbranch_scc1 .LBB14_44
.LBB14_50:                              ;   Parent Loop BB14_45 Depth=1
                                        ; =>  This Inner Loop Header: Depth=2
	v_cmp_eq_u32_e32 vcc, s14, v10
	s_and_saveexec_b64 s[10:11], vcc
	s_cbranch_execz .LBB14_52
; %bb.51:                               ;   in Loop: Header=BB14_50 Depth=2
	ds_read_b128 v[14:17], v6
	v_add_f64 v[20:21], -v[2:3], 0
	s_waitcnt lgkmcnt(0)
	v_mul_f64 v[18:19], v[4:5], v[16:17]
	v_mul_f64 v[22:23], v[4:5], v[14:15]
	v_fmac_f64_e32 v[18:19], v[20:21], v[14:15]
	v_fma_f64 v[20:21], v[20:21], v[16:17], -v[22:23]
	ds_write_b128 v9, v[18:21]
.LBB14_52:                              ;   in Loop: Header=BB14_50 Depth=2
	s_or_b64 exec, exec, s[10:11]
	v_cmp_lt_i32_e32 vcc, s14, v10
	s_and_saveexec_b64 s[10:11], vcc
	s_cbranch_execz .LBB14_49
; %bb.53:                               ;   in Loop: Header=BB14_50 Depth=2
	ds_read_b128 v[14:17], v13
	ds_read_b128 v[18:21], v11
	s_waitcnt lgkmcnt(0)
	v_mul_f64 v[22:23], v[16:17], v[20:21]
	v_mul_f64 v[20:21], v[14:15], v[20:21]
	v_fma_f64 v[14:15], v[14:15], v[18:19], -v[22:23]
	v_fmac_f64_e32 v[20:21], v[16:17], v[18:19]
	v_add_f64 v[2:3], v[2:3], v[14:15]
	v_add_f64 v[4:5], v[4:5], v[20:21]
	s_branch .LBB14_49
.LBB14_54:
	s_or_b64 exec, exec, s[8:9]
	s_and_b32 s6, s33, 0xffff
	v_cvt_f32_u32_e32 v1, s6
	v_cvt_f32_ubyte0_e32 v2, v0
	s_cmpk_lg_i32 s20, 0x7a
	s_cselect_b64 s[10:11], -1, 0
	v_rcp_iflag_f32_e32 v3, v1
	s_mul_i32 s6, s33, s33
	v_cmp_gt_u32_e64 s[8:9], s6, v0
	s_waitcnt lgkmcnt(0)
	v_mul_f32_e32 v3, v2, v3
	v_trunc_f32_e32 v3, v3
	v_cvt_u32_f32_e32 v4, v3
	v_mad_f32 v2, -v3, v1, v2
	v_cmp_ge_f32_e64 vcc, |v2|, v1
	s_barrier
	v_addc_co_u32_e32 v1, vcc, 0, v4, vcc
	v_and_b32_e32 v9, 0xffff, v1
	v_mul_lo_u16_e32 v1, s33, v1
	v_sub_u16_e32 v8, v0, v1
	s_and_b64 vcc, exec, s[10:11]
	s_cbranch_vccz .LBB14_65
; %bb.55:
	s_mov_b64 s[12:13], 0
	s_mov_b64 s[20:21], 0
                                        ; implicit-def: $vgpr2_vgpr3
                                        ; implicit-def: $vgpr4
	s_and_saveexec_b64 s[14:15], s[8:9]
	s_cbranch_execz .LBB14_66
; %bb.56:
	v_pk_mov_b32 v[0:1], 0, 0
	v_add_u32_e32 v6, 1, v9
	v_cmp_lt_u16_e32 vcc, 6, v9
	v_mov_b32_e32 v4, 0
	v_lshlrev_b32_e32 v5, 8, v9
	v_pk_mov_b32 v[2:3], v[0:1], v[0:1] op_sel:[0,1]
	s_and_saveexec_b64 s[20:21], vcc
	s_cbranch_execz .LBB14_60
; %bb.57:
	v_pk_mov_b32 v[2:3], 0, 0
	v_and_b32_e32 v4, 0x7f8, v6
	v_lshlrev_b32_e32 v7, 4, v8
	v_sub_u32_e32 v11, 0x3f80, v5
	s_mov_b64 s[22:23], 0
	s_mov_b32 s6, 0
	v_pk_mov_b32 v[0:1], v[2:3], v[2:3] op_sel:[0,1]
.LBB14_58:                              ; =>This Inner Loop Header: Depth=1
	ds_read_b128 v[14:17], v11 offset:112
	ds_read_b128 v[18:21], v11 offset:96
	ds_read_b128 v[22:25], v7
	ds_read_b128 v[26:29], v7 offset:256
	ds_read_b128 v[30:33], v11 offset:80
	;; [unrolled: 1-line block ×5, first 2 shown]
	ds_read_b128 v[46:49], v11
	ds_read_b128 v[50:53], v11 offset:16
	ds_read_b128 v[54:57], v11 offset:32
	;; [unrolled: 1-line block ×7, first 2 shown]
	s_waitcnt lgkmcnt(13)
	v_mul_f64 v[78:79], v[16:17], v[24:25]
	v_mul_f64 v[24:25], v[14:15], v[24:25]
	s_waitcnt lgkmcnt(12)
	v_mul_f64 v[80:81], v[20:21], v[28:29]
	v_mul_f64 v[28:29], v[18:19], v[28:29]
	v_fma_f64 v[14:15], v[14:15], v[22:23], -v[78:79]
	v_fmac_f64_e32 v[24:25], v[16:17], v[22:23]
	s_waitcnt lgkmcnt(9)
	v_mul_f64 v[82:83], v[32:33], v[40:41]
	v_mul_f64 v[40:41], v[30:31], v[40:41]
	v_fma_f64 v[16:17], v[18:19], v[26:27], -v[80:81]
	v_fmac_f64_e32 v[28:29], v[20:21], v[26:27]
	v_add_f64 v[0:1], v[0:1], v[14:15]
	v_add_f64 v[2:3], v[2:3], v[24:25]
	s_waitcnt lgkmcnt(8)
	v_mul_f64 v[84:85], v[36:37], v[44:45]
	v_mul_f64 v[44:45], v[34:35], v[44:45]
	v_fma_f64 v[18:19], v[30:31], v[38:39], -v[82:83]
	v_fmac_f64_e32 v[40:41], v[32:33], v[38:39]
	v_add_f64 v[0:1], v[0:1], v[16:17]
	v_add_f64 v[2:3], v[2:3], v[28:29]
	;; [unrolled: 7-line block ×5, first 2 shown]
	s_add_i32 s6, s6, 8
	s_waitcnt lgkmcnt(0)
	v_mul_f64 v[92:93], v[48:49], v[76:77]
	v_mul_f64 v[76:77], v[46:47], v[76:77]
	v_fma_f64 v[30:31], v[50:51], v[70:71], -v[90:91]
	v_fmac_f64_e32 v[72:73], v[52:53], v[70:71]
	v_add_f64 v[0:1], v[0:1], v[26:27]
	v_add_f64 v[2:3], v[2:3], v[68:69]
	v_cmp_eq_u32_e32 vcc, s6, v4
	v_fma_f64 v[32:33], v[46:47], v[74:75], -v[92:93]
	v_fmac_f64_e32 v[76:77], v[48:49], v[74:75]
	v_add_f64 v[0:1], v[0:1], v[30:31]
	v_add_f64 v[2:3], v[2:3], v[72:73]
	v_add_u32_e32 v7, 0x800, v7
	v_add_u32_e32 v11, 0xffffff80, v11
	s_or_b64 s[22:23], vcc, s[22:23]
	v_add_f64 v[0:1], v[0:1], v[32:33]
	v_add_f64 v[2:3], v[2:3], v[76:77]
	s_andn2_b64 exec, exec, s[22:23]
	s_cbranch_execnz .LBB14_58
; %bb.59:
	s_or_b64 exec, exec, s[22:23]
.LBB14_60:
	s_or_b64 exec, exec, s[20:21]
	v_and_b32_e32 v6, 7, v6
	v_cmp_ne_u32_e32 vcc, 0, v6
	s_and_saveexec_b64 s[20:21], vcc
	s_cbranch_execz .LBB14_64
; %bb.61:
	v_lshl_add_u32 v5, v4, 4, v5
	v_lshlrev_b32_e32 v7, 4, v8
	v_sub_u32_e32 v5, 0x3ff0, v5
	v_lshl_add_u32 v4, v4, 8, v7
	s_mov_b64 s[22:23], 0
.LBB14_62:                              ; =>This Inner Loop Header: Depth=1
	ds_read_b128 v[14:17], v5
	ds_read_b128 v[18:21], v4
	v_add_u32_e32 v6, -1, v6
	v_cmp_eq_u32_e32 vcc, 0, v6
	v_add_u32_e32 v5, -16, v5
	v_add_u32_e32 v4, 0x100, v4
	s_waitcnt lgkmcnt(0)
	v_mul_f64 v[22:23], v[16:17], v[20:21]
	v_mul_f64 v[20:21], v[14:15], v[20:21]
	v_fma_f64 v[14:15], v[14:15], v[18:19], -v[22:23]
	v_fmac_f64_e32 v[20:21], v[16:17], v[18:19]
	s_or_b64 s[22:23], vcc, s[22:23]
	v_add_f64 v[0:1], v[0:1], v[14:15]
	v_add_f64 v[2:3], v[2:3], v[20:21]
	s_andn2_b64 exec, exec, s[22:23]
	s_cbranch_execnz .LBB14_62
; %bb.63:
	s_or_b64 exec, exec, s[22:23]
.LBB14_64:
	s_or_b64 exec, exec, s[20:21]
	s_mov_b64 s[20:21], exec
	v_lshlrev_b32_e32 v4, 4, v9
	s_or_b64 exec, exec, s[14:15]
	s_and_b64 vcc, exec, s[12:13]
	s_cbranch_vccnz .LBB14_67
	s_branch .LBB14_74
.LBB14_65:
	s_mov_b64 s[20:21], 0
                                        ; implicit-def: $vgpr2_vgpr3
                                        ; implicit-def: $vgpr4
	s_cbranch_execnz .LBB14_67
	s_branch .LBB14_74
.LBB14_66:
	s_or_b64 exec, exec, s[14:15]
	s_and_b64 vcc, exec, s[12:13]
	s_cbranch_vccz .LBB14_74
.LBB14_67:
                                        ; implicit-def: $vgpr2_vgpr3
                                        ; implicit-def: $vgpr4
	s_and_saveexec_b64 s[12:13], s[8:9]
	s_cbranch_execz .LBB14_73
; %bb.68:
	v_pk_mov_b32 v[2:3], 0, 0
	v_cmp_gt_u16_e32 vcc, 16, v9
	v_pk_mov_b32 v[0:1], v[2:3], v[2:3] op_sel:[0,1]
	s_and_saveexec_b64 s[14:15], vcc
	s_cbranch_execz .LBB14_72
; %bb.69:
	v_lshlrev_b32_e32 v0, 4, v8
	v_lshl_add_u32 v4, v9, 8, v0
	s_movk_i32 s6, 0x110
	v_mov_b32_e32 v0, 0x2000
	v_pk_mov_b32 v[2:3], 0, 0
	v_add_u32_e32 v5, -1, v9
	v_mad_u32_u24 v6, v9, s6, v0
	s_mov_b64 s[22:23], 0
	v_pk_mov_b32 v[0:1], v[2:3], v[2:3] op_sel:[0,1]
.LBB14_70:                              ; =>This Inner Loop Header: Depth=1
	ds_read_b128 v[14:17], v6
	ds_read_b128 v[18:21], v4
	v_add_u32_e32 v5, 1, v5
	v_cmp_lt_u32_e32 vcc, 14, v5
	v_add_u32_e32 v4, 0x100, v4
	v_add_u32_e32 v6, 16, v6
	s_waitcnt lgkmcnt(0)
	v_mul_f64 v[22:23], v[16:17], v[20:21]
	v_mul_f64 v[20:21], v[14:15], v[20:21]
	v_fma_f64 v[14:15], v[14:15], v[18:19], -v[22:23]
	v_fmac_f64_e32 v[20:21], v[16:17], v[18:19]
	s_or_b64 s[22:23], vcc, s[22:23]
	v_add_f64 v[0:1], v[0:1], v[14:15]
	v_add_f64 v[2:3], v[2:3], v[20:21]
	s_andn2_b64 exec, exec, s[22:23]
	s_cbranch_execnz .LBB14_70
; %bb.71:
	s_or_b64 exec, exec, s[22:23]
.LBB14_72:
	s_or_b64 exec, exec, s[14:15]
	v_lshlrev_b32_e32 v4, 4, v9
	s_or_b64 s[20:21], s[20:21], exec
.LBB14_73:
	s_or_b64 exec, exec, s[12:13]
.LBB14_74:
	s_and_saveexec_b64 s[12:13], s[20:21]
	s_cbranch_execz .LBB14_76
; %bb.75:
	v_add_lshl_u32 v4, v4, v8, 4
	ds_write_b128 v4, v[0:3] offset:4096
.LBB14_76:
	s_or_b64 exec, exec, s[12:13]
	s_load_dword s12, s[4:5], 0x48
	s_load_dwordx4 s[20:23], s[4:5], 0x50
	s_waitcnt lgkmcnt(0)
	s_barrier
	s_ashr_i32 s13, s12, 31
	s_mul_i32 s5, s7, s21
	s_mul_hi_u32 s6, s7, s20
	s_mul_i32 s4, s7, s20
	s_add_i32 s5, s6, s5
	s_lshl_b64 s[6:7], s[4:5], 4
	s_add_u32 s14, s16, s6
	s_addc_u32 s15, s17, s7
	s_lshl_b64 s[4:5], s[18:19], 4
	s_add_u32 s18, s14, s4
	s_addc_u32 s19, s15, s5
	;; [unrolled: 3-line block ×3, first 2 shown]
	s_mul_i32 s15, s15, s36
	s_mul_hi_u32 s20, s14, s36
	s_add_i32 s15, s20, s15
	s_mul_i32 s14, s14, s36
	s_lshl_b64 s[14:15], s[14:15], 4
	s_add_u32 s20, s18, s14
	s_addc_u32 s21, s19, s15
	s_mul_i32 s18, s35, s23
	s_mul_hi_u32 s19, s35, s22
	s_add_i32 s19, s19, s18
	s_mul_i32 s18, s35, s22
	s_lshl_b64 s[18:19], s[18:19], 4
	s_add_u32 s26, s20, s18
	s_addc_u32 s27, s21, s19
	s_and_b64 vcc, exec, s[10:11]
	s_cbranch_vccz .LBB14_82
; %bb.77:
	s_mov_b64 s[22:23], 0
	s_mov_b64 s[20:21], 0
                                        ; implicit-def: $vgpr0_vgpr1
                                        ; implicit-def: $vgpr4_vgpr5
	s_and_saveexec_b64 s[24:25], s[8:9]
	s_cbranch_execz .LBB14_81
; %bb.78:
	v_mad_u32_u24 v0, s33, v9, v8
	v_mov_b32_e32 v1, 0x1000
	v_lshl_add_u32 v6, v0, 4, v1
	v_sub_u32_e32 v0, s33, v8
	v_mul_i32_i24_e32 v0, s33, v0
	v_lshlrev_b32_e32 v0, 4, v0
	v_lshlrev_b32_e32 v4, 4, v8
	v_sub_u32_e32 v0, v0, v4
	s_lshl_b32 s20, s33, 4
	v_pk_mov_b32 v[2:3], 0, 0
	v_add_u32_e32 v5, -1, v8
	v_add_u32_e32 v7, 0x1ff0, v0
	s_sub_i32 s28, 0, s20
	s_mov_b64 s[20:21], 0
	v_pk_mov_b32 v[0:1], v[2:3], v[2:3] op_sel:[0,1]
.LBB14_79:                              ; =>This Inner Loop Header: Depth=1
	ds_read_b128 v[14:17], v7
	ds_read_b128 v[18:21], v6
	v_add_u32_e32 v5, 1, v5
	v_cmp_lt_u32_e32 vcc, 14, v5
	v_add_u32_e32 v6, 16, v6
	v_add_u32_e32 v7, s28, v7
	s_waitcnt lgkmcnt(0)
	v_mul_f64 v[22:23], v[14:15], v[18:19]
	v_mul_f64 v[14:15], v[14:15], v[20:21]
	v_fma_f64 v[20:21], v[16:17], v[20:21], -v[22:23]
	v_fma_f64 v[14:15], v[18:19], -v[16:17], -v[14:15]
	s_or_b64 s[20:21], vcc, s[20:21]
	v_add_f64 v[2:3], v[2:3], v[20:21]
	v_add_f64 v[0:1], v[0:1], v[14:15]
	s_andn2_b64 exec, exec, s[20:21]
	s_cbranch_execnz .LBB14_79
; %bb.80:
	s_or_b64 exec, exec, s[20:21]
	s_mul_hi_i32 s29, s33, s12
	s_mul_i32 s28, s33, s12
	s_lshl_b64 s[28:29], s[28:29], 4
	s_add_u32 s28, s26, s28
	s_addc_u32 s29, s27, s29
	v_mad_i64_i32 v[6:7], s[30:31], v9, s12, 0
	v_mov_b32_e32 v5, s29
	v_add_co_u32_e32 v11, vcc, s28, v4
	v_addc_co_u32_e32 v13, vcc, 0, v5, vcc
	v_lshlrev_b64 v[4:5], 4, v[6:7]
	v_add_co_u32_e32 v4, vcc, v11, v4
	s_mov_b64 s[20:21], exec
	v_addc_co_u32_e32 v5, vcc, v13, v5, vcc
	global_store_dwordx2 v[4:5], v[2:3], off
.LBB14_81:
	s_or_b64 exec, exec, s[24:25]
	s_and_b64 vcc, exec, s[22:23]
	s_cbranch_vccnz .LBB14_83
	s_branch .LBB14_94
.LBB14_82:
	s_mov_b64 s[20:21], 0
                                        ; implicit-def: $vgpr0_vgpr1
                                        ; implicit-def: $vgpr4_vgpr5
	s_cbranch_execz .LBB14_94
.LBB14_83:
                                        ; implicit-def: $vgpr0_vgpr1
                                        ; implicit-def: $vgpr4_vgpr5
	s_and_saveexec_b64 s[22:23], s[8:9]
	s_cbranch_execz .LBB14_93
; %bb.84:
	v_pk_mov_b32 v[0:1], 0, 0
	v_mul_u32_u24_e32 v5, s33, v9
	v_add_u32_e32 v13, 1, v8
	v_cmp_lt_u16_e32 vcc, 6, v8
	v_mov_b32_e32 v11, 0
	v_pk_mov_b32 v[2:3], v[0:1], v[0:1] op_sel:[0,1]
	s_and_saveexec_b64 s[8:9], vcc
	s_cbranch_execz .LBB14_88
; %bb.85:
	v_mov_b32_e32 v0, 0x1000
	v_lshl_add_u32 v14, v5, 4, v0
	v_mov_b32_e32 v0, 0x3000
	v_lshl_add_u32 v4, v8, 4, v0
	v_mad_u64_u32 v[6:7], s[24:25], s33, 48, v[4:5]
	s_mul_i32 s24, s33, 0x50
	v_add_u32_e32 v17, s24, v4
	s_mul_i32 s24, s33, 0x60
	v_add_u32_e32 v18, s24, v4
	s_mul_i32 s24, s33, 0x70
	v_pk_mov_b32 v[2:3], 0, 0
	v_and_b32_e32 v11, 56, v13
	v_lshl_add_u32 v15, s33, 4, v4
	s_lshl_b32 s28, s33, 7
	v_lshl_add_u32 v16, s33, 5, v4
	v_lshl_add_u32 v7, s33, 6, v4
	v_add_u32_e32 v19, s24, v4
	s_mov_b64 s[24:25], 0
	s_mov_b32 s29, 0
	v_pk_mov_b32 v[0:1], v[2:3], v[2:3] op_sel:[0,1]
.LBB14_86:                              ; =>This Inner Loop Header: Depth=1
	ds_read_b128 v[20:23], v14
	ds_read_b128 v[24:27], v14 offset:16
	ds_read_b128 v[28:31], v14 offset:32
	;; [unrolled: 1-line block ×3, first 2 shown]
	ds_read_b128 v[36:39], v15
	ds_read_b128 v[40:43], v16
	;; [unrolled: 1-line block ×6, first 2 shown]
	ds_read_b128 v[60:63], v14 offset:64
	ds_read_b128 v[64:67], v14 offset:80
	ds_read_b128 v[68:71], v18
	ds_read_b128 v[72:75], v19
	ds_read_b128 v[76:79], v14 offset:96
	ds_read_b128 v[80:83], v14 offset:112
	s_waitcnt lgkmcnt(9)
	v_mul_f64 v[84:85], v[44:45], v[20:21]
	v_mul_f64 v[44:45], v[44:45], v[22:23]
	;; [unrolled: 1-line block ×4, first 2 shown]
	v_fma_f64 v[22:23], v[46:47], v[22:23], -v[84:85]
	v_fma_f64 v[20:21], v[20:21], -v[46:47], -v[44:45]
	v_mul_f64 v[88:89], v[40:41], v[28:29]
	v_mul_f64 v[40:41], v[40:41], v[30:31]
	v_fma_f64 v[26:27], v[38:39], v[26:27], -v[86:87]
	v_fma_f64 v[24:25], v[24:25], -v[38:39], -v[36:37]
	v_add_f64 v[2:3], v[2:3], v[22:23]
	v_add_f64 v[0:1], v[0:1], v[20:21]
	s_waitcnt lgkmcnt(8)
	v_mul_f64 v[90:91], v[48:49], v[32:33]
	v_mul_f64 v[48:49], v[48:49], v[34:35]
	v_fma_f64 v[30:31], v[42:43], v[30:31], -v[88:89]
	v_fma_f64 v[28:29], v[28:29], -v[42:43], -v[40:41]
	v_add_f64 v[2:3], v[2:3], v[26:27]
	v_add_f64 v[0:1], v[0:1], v[24:25]
	s_waitcnt lgkmcnt(5)
	;; [unrolled: 7-line block ×4, first 2 shown]
	v_mul_f64 v[96:97], v[68:69], v[76:77]
	v_mul_f64 v[68:69], v[68:69], v[78:79]
	v_fma_f64 v[40:41], v[58:59], v[66:67], -v[94:95]
	v_fma_f64 v[42:43], v[64:65], -v[58:59], -v[56:57]
	v_add_f64 v[2:3], v[2:3], v[36:37]
	v_add_f64 v[0:1], v[0:1], v[38:39]
	s_add_i32 s29, s29, 8
	s_waitcnt lgkmcnt(0)
	v_mul_f64 v[98:99], v[72:73], v[80:81]
	v_mul_f64 v[72:73], v[72:73], v[82:83]
	v_fma_f64 v[44:45], v[70:71], v[78:79], -v[96:97]
	v_fma_f64 v[46:47], v[76:77], -v[70:71], -v[68:69]
	v_add_f64 v[2:3], v[2:3], v[40:41]
	v_add_f64 v[0:1], v[0:1], v[42:43]
	v_cmp_eq_u32_e32 vcc, s29, v11
	v_fma_f64 v[48:49], v[74:75], v[82:83], -v[98:99]
	v_fma_f64 v[50:51], v[80:81], -v[74:75], -v[72:73]
	v_add_f64 v[2:3], v[2:3], v[44:45]
	v_add_f64 v[0:1], v[0:1], v[46:47]
	v_add_u32_e32 v14, 0x80, v14
	v_add_u32_e32 v15, s28, v15
	;; [unrolled: 1-line block ×9, first 2 shown]
	s_or_b64 s[24:25], vcc, s[24:25]
	v_add_f64 v[2:3], v[2:3], v[48:49]
	v_add_f64 v[0:1], v[0:1], v[50:51]
	s_andn2_b64 exec, exec, s[24:25]
	s_cbranch_execnz .LBB14_86
; %bb.87:
	s_or_b64 exec, exec, s[24:25]
.LBB14_88:
	s_or_b64 exec, exec, s[8:9]
	v_and_b32_e32 v4, 7, v13
	v_cmp_ne_u32_e32 vcc, 0, v4
	s_and_saveexec_b64 s[8:9], vcc
	s_cbranch_execz .LBB14_92
; %bb.89:
	v_add_u32_e32 v5, v5, v11
	v_mov_b32_e32 v6, 0x1000
	v_lshl_add_u32 v5, v5, 4, v6
	v_mad_u32_u24 v6, v11, s33, v8
	v_mov_b32_e32 v7, 0x3000
	v_lshl_add_u32 v6, v6, 4, v7
	s_lshl_b32 s28, s33, 4
	s_mov_b64 s[24:25], 0
.LBB14_90:                              ; =>This Inner Loop Header: Depth=1
	ds_read_b128 v[14:17], v6
	ds_read_b128 v[18:21], v5
	v_add_u32_e32 v4, -1, v4
	v_cmp_eq_u32_e32 vcc, 0, v4
	v_add_u32_e32 v5, 16, v5
	v_add_u32_e32 v6, s28, v6
	s_waitcnt lgkmcnt(0)
	v_mul_f64 v[22:23], v[14:15], v[18:19]
	v_mul_f64 v[14:15], v[14:15], v[20:21]
	v_fma_f64 v[20:21], v[16:17], v[20:21], -v[22:23]
	v_fma_f64 v[14:15], v[18:19], -v[16:17], -v[14:15]
	s_or_b64 s[24:25], vcc, s[24:25]
	v_add_f64 v[2:3], v[2:3], v[20:21]
	v_add_f64 v[0:1], v[0:1], v[14:15]
	s_andn2_b64 exec, exec, s[24:25]
	s_cbranch_execnz .LBB14_90
; %bb.91:
	s_or_b64 exec, exec, s[24:25]
.LBB14_92:
	s_or_b64 exec, exec, s[8:9]
	v_mad_i64_i32 v[4:5], s[8:9], v9, s12, 0
	v_lshlrev_b64 v[4:5], 4, v[4:5]
	v_mov_b32_e32 v6, s27
	v_add_co_u32_e32 v4, vcc, s26, v4
	v_addc_co_u32_e32 v5, vcc, v6, v5, vcc
	v_add_lshl_u32 v6, s33, v8, 4
	v_add_co_u32_e32 v4, vcc, v4, v6
	v_addc_co_u32_e32 v5, vcc, 0, v5, vcc
	global_store_dwordx2 v[4:5], v[2:3], off
	s_or_b64 s[20:21], s[20:21], exec
.LBB14_93:
	s_or_b64 exec, exec, s[22:23]
.LBB14_94:
	s_and_saveexec_b64 s[8:9], s[20:21]
	s_cbranch_execnz .LBB14_96
; %bb.95:
	s_or_b64 exec, exec, s[8:9]
	s_and_saveexec_b64 s[8:9], s[2:3]
	s_cbranch_execnz .LBB14_97
	s_branch .LBB14_108
.LBB14_96:
	global_store_dwordx2 v[4:5], v[0:1], off offset:8
	s_or_b64 exec, exec, s[8:9]
	s_and_saveexec_b64 s[8:9], s[2:3]
	s_cbranch_execz .LBB14_108
.LBB14_97:
	v_pk_mov_b32 v[0:1], 0, 0
	s_and_saveexec_b64 s[2:3], s[0:1]
	s_cbranch_execnz .LBB14_100
; %bb.98:
	s_or_b64 exec, exec, s[2:3]
	s_mov_b64 s[0:1], -1
	s_and_b64 vcc, exec, s[10:11]
	s_cbranch_vccnz .LBB14_101
.LBB14_99:
	s_andn2_b64 vcc, exec, s[0:1]
	s_cbranch_vccz .LBB14_105
	s_branch .LBB14_108
.LBB14_100:
	s_add_u32 s0, s12, 1
	s_addc_u32 s1, s13, 0
	s_mul_i32 s1, s1, s33
	s_mul_hi_u32 s8, s0, s33
	s_add_i32 s1, s8, s1
	s_mul_i32 s0, s0, s33
	v_pk_mov_b32 v[0:1], s[0:1], s[0:1] op_sel:[0,1]
	s_or_b64 exec, exec, s[2:3]
	s_mov_b64 s[0:1], -1
	s_and_b64 vcc, exec, s[10:11]
	s_cbranch_vccz .LBB14_99
.LBB14_101:
	v_cmp_gt_i32_e32 vcc, s33, v10
	s_and_saveexec_b64 s[0:1], vcc
	s_cbranch_execz .LBB14_104
; %bb.102:
	s_cmp_lt_u32 s34, 16
	s_cselect_b32 s3, s34, 16
	s_cselect_b32 s2, 0, 0
	s_add_u32 s8, s3, -1
	s_addc_u32 s2, s2, -1
	s_mul_i32 s3, s8, s13
	s_mul_hi_u32 s9, s8, s12
	s_add_i32 s3, s9, s3
	s_mul_i32 s2, s2, s12
	s_add_i32 s3, s3, s2
	s_mul_i32 s2, s8, s12
	s_lshl_b64 s[2:3], s[2:3], 4
	s_add_u32 s2, s2, s18
	s_addc_u32 s3, s3, s19
	s_add_u32 s2, s2, s6
	s_addc_u32 s3, s3, s7
	;; [unrolled: 2-line block ×3, first 2 shown]
	v_xad_u32 v2, v10, -1, s33
	s_add_u32 s2, s4, s2
	v_lshl_add_u32 v4, v2, 4, v12
	v_lshlrev_b64 v[2:3], 4, v[0:1]
	s_addc_u32 s3, s5, s3
	v_ashrrev_i32_e32 v11, 31, v10
	v_mov_b32_e32 v5, s3
	v_add_co_u32_e32 v6, vcc, s2, v2
	v_addc_co_u32_e32 v5, vcc, v5, v3, vcc
	v_lshlrev_b64 v[2:3], 4, v[10:11]
	v_add_co_u32_e32 v2, vcc, v6, v2
	s_lshl_b64 s[4:5], s[12:13], 4
	v_addc_co_u32_e32 v3, vcc, v5, v3, vcc
	s_sub_u32 s4, 0, s4
	v_mov_b32_e32 v5, s17
	v_add_co_u32_e32 v2, vcc, s16, v2
	s_subb_u32 s6, 0, s5
	v_addc_co_u32_e32 v3, vcc, v5, v3, vcc
	s_mov_b64 s[2:3], 0
	s_lshl_b32 s5, s33, 4
	v_mov_b32_e32 v5, s6
	s_mov_b32 s6, s33
.LBB14_103:                             ; =>This Inner Loop Header: Depth=1
	ds_read2_b64 v[6:9], v4 offset1:1
	s_add_i32 s6, s6, -1
	v_cmp_le_i32_e32 vcc, s6, v10
	s_or_b64 s[2:3], vcc, s[2:3]
	v_add_u32_e32 v4, s5, v4
	s_waitcnt lgkmcnt(0)
	global_store_dwordx4 v[2:3], v[6:9], off
	v_add_co_u32_e32 v2, vcc, s4, v2
	v_addc_co_u32_e32 v3, vcc, v3, v5, vcc
	s_andn2_b64 exec, exec, s[2:3]
	s_cbranch_execnz .LBB14_103
.LBB14_104:
	s_or_b64 exec, exec, s[0:1]
	s_cbranch_execnz .LBB14_108
.LBB14_105:
	v_cmp_lt_i32_e32 vcc, -1, v10
	s_and_b64 exec, exec, vcc
	s_cbranch_execz .LBB14_108
; %bb.106:
	v_lshlrev_b64 v[0:1], 4, v[0:1]
	v_mov_b32_e32 v11, 0
	v_mov_b32_e32 v3, s27
	v_add_co_u32_e32 v4, vcc, s26, v0
	v_addc_co_u32_e32 v3, vcc, v3, v1, vcc
	v_lshlrev_b64 v[0:1], 4, v[10:11]
	v_add_co_u32_e32 v0, vcc, v4, v0
	s_lshl_b64 s[0:1], s[12:13], 4
	v_lshl_add_u32 v2, v10, 4, v12
	v_addc_co_u32_e32 v1, vcc, v3, v1, vcc
	v_add_u32_e32 v3, 1, v10
	s_lshl_b32 s4, s33, 4
	s_mov_b64 s[2:3], 0
	v_mov_b32_e32 v4, s1
.LBB14_107:                             ; =>This Inner Loop Header: Depth=1
	ds_read2_b64 v[6:9], v2 offset1:1
	v_add_u32_e32 v3, -1, v3
	v_cmp_eq_u32_e32 vcc, 0, v3
	s_or_b64 s[2:3], vcc, s[2:3]
	v_add_u32_e32 v2, s4, v2
	s_waitcnt lgkmcnt(0)
	global_store_dwordx4 v[0:1], v[6:9], off
	v_add_co_u32_e32 v0, vcc, s0, v0
	v_addc_co_u32_e32 v1, vcc, v1, v4, vcc
	s_andn2_b64 exec, exec, s[2:3]
	s_cbranch_execnz .LBB14_107
.LBB14_108:
	s_endpgm
	.section	.rodata,"a",@progbits
	.p2align	6, 0x0
	.amdhsa_kernel _ZL29rocblas_trtri_diagonal_kernelILi16E19rocblas_complex_numIdEPKS1_PS1_Ev13rocblas_fill_17rocblas_diagonal_iT1_lillT2_lilli
		.amdhsa_group_segment_fixed_size 16384
		.amdhsa_private_segment_fixed_size 0
		.amdhsa_kernarg_size 100
		.amdhsa_user_sgpr_count 6
		.amdhsa_user_sgpr_private_segment_buffer 1
		.amdhsa_user_sgpr_dispatch_ptr 0
		.amdhsa_user_sgpr_queue_ptr 0
		.amdhsa_user_sgpr_kernarg_segment_ptr 1
		.amdhsa_user_sgpr_dispatch_id 0
		.amdhsa_user_sgpr_flat_scratch_init 0
		.amdhsa_user_sgpr_kernarg_preload_length 0
		.amdhsa_user_sgpr_kernarg_preload_offset 0
		.amdhsa_user_sgpr_private_segment_size 0
		.amdhsa_uses_dynamic_stack 0
		.amdhsa_system_sgpr_private_segment_wavefront_offset 0
		.amdhsa_system_sgpr_workgroup_id_x 1
		.amdhsa_system_sgpr_workgroup_id_y 0
		.amdhsa_system_sgpr_workgroup_id_z 1
		.amdhsa_system_sgpr_workgroup_info 0
		.amdhsa_system_vgpr_workitem_id 0
		.amdhsa_next_free_vgpr 100
		.amdhsa_next_free_sgpr 44
		.amdhsa_accum_offset 100
		.amdhsa_reserve_vcc 1
		.amdhsa_reserve_flat_scratch 0
		.amdhsa_float_round_mode_32 0
		.amdhsa_float_round_mode_16_64 0
		.amdhsa_float_denorm_mode_32 3
		.amdhsa_float_denorm_mode_16_64 3
		.amdhsa_dx10_clamp 1
		.amdhsa_ieee_mode 1
		.amdhsa_fp16_overflow 0
		.amdhsa_tg_split 0
		.amdhsa_exception_fp_ieee_invalid_op 0
		.amdhsa_exception_fp_denorm_src 0
		.amdhsa_exception_fp_ieee_div_zero 0
		.amdhsa_exception_fp_ieee_overflow 0
		.amdhsa_exception_fp_ieee_underflow 0
		.amdhsa_exception_fp_ieee_inexact 0
		.amdhsa_exception_int_div_zero 0
	.end_amdhsa_kernel
	.section	.text._ZL29rocblas_trtri_diagonal_kernelILi16E19rocblas_complex_numIdEPKS1_PS1_Ev13rocblas_fill_17rocblas_diagonal_iT1_lillT2_lilli,"axG",@progbits,_ZL29rocblas_trtri_diagonal_kernelILi16E19rocblas_complex_numIdEPKS1_PS1_Ev13rocblas_fill_17rocblas_diagonal_iT1_lillT2_lilli,comdat
.Lfunc_end14:
	.size	_ZL29rocblas_trtri_diagonal_kernelILi16E19rocblas_complex_numIdEPKS1_PS1_Ev13rocblas_fill_17rocblas_diagonal_iT1_lillT2_lilli, .Lfunc_end14-_ZL29rocblas_trtri_diagonal_kernelILi16E19rocblas_complex_numIdEPKS1_PS1_Ev13rocblas_fill_17rocblas_diagonal_iT1_lillT2_lilli
                                        ; -- End function
	.section	.AMDGPU.csdata,"",@progbits
; Kernel info:
; codeLenInByte = 5420
; NumSgprs: 48
; NumVgprs: 100
; NumAgprs: 0
; TotalNumVgprs: 100
; ScratchSize: 0
; MemoryBound: 1
; FloatMode: 240
; IeeeMode: 1
; LDSByteSize: 16384 bytes/workgroup (compile time only)
; SGPRBlocks: 5
; VGPRBlocks: 12
; NumSGPRsForWavesPerEU: 48
; NumVGPRsForWavesPerEU: 100
; AccumOffset: 100
; Occupancy: 4
; WaveLimiterHint : 0
; COMPUTE_PGM_RSRC2:SCRATCH_EN: 0
; COMPUTE_PGM_RSRC2:USER_SGPR: 6
; COMPUTE_PGM_RSRC2:TRAP_HANDLER: 0
; COMPUTE_PGM_RSRC2:TGID_X_EN: 1
; COMPUTE_PGM_RSRC2:TGID_Y_EN: 0
; COMPUTE_PGM_RSRC2:TGID_Z_EN: 1
; COMPUTE_PGM_RSRC2:TIDIG_COMP_CNT: 0
; COMPUTE_PGM_RSRC3_GFX90A:ACCUM_OFFSET: 24
; COMPUTE_PGM_RSRC3_GFX90A:TG_SPLIT: 0
	.section	.text._ZL30rocblas_trtri_remainder_kernelILi16E19rocblas_complex_numIdEPKS1_PS1_Ev13rocblas_fill_17rocblas_diagonal_iT1_lillT2_lilli,"axG",@progbits,_ZL30rocblas_trtri_remainder_kernelILi16E19rocblas_complex_numIdEPKS1_PS1_Ev13rocblas_fill_17rocblas_diagonal_iT1_lillT2_lilli,comdat
	.globl	_ZL30rocblas_trtri_remainder_kernelILi16E19rocblas_complex_numIdEPKS1_PS1_Ev13rocblas_fill_17rocblas_diagonal_iT1_lillT2_lilli ; -- Begin function _ZL30rocblas_trtri_remainder_kernelILi16E19rocblas_complex_numIdEPKS1_PS1_Ev13rocblas_fill_17rocblas_diagonal_iT1_lillT2_lilli
	.p2align	8
	.type	_ZL30rocblas_trtri_remainder_kernelILi16E19rocblas_complex_numIdEPKS1_PS1_Ev13rocblas_fill_17rocblas_diagonal_iT1_lillT2_lilli,@function
_ZL30rocblas_trtri_remainder_kernelILi16E19rocblas_complex_numIdEPKS1_PS1_Ev13rocblas_fill_17rocblas_diagonal_iT1_lillT2_lilli: ; @_ZL30rocblas_trtri_remainder_kernelILi16E19rocblas_complex_numIdEPKS1_PS1_Ev13rocblas_fill_17rocblas_diagonal_iT1_lillT2_lilli
; %bb.0:
	s_load_dwordx4 s[16:19], s[4:5], 0x0
	s_waitcnt lgkmcnt(0)
	s_cmp_lt_i32 s18, 1
	s_cbranch_scc1 .LBB15_51
; %bb.1:
	s_load_dwordx8 s[8:15], s[4:5], 0x28
	v_cmp_le_u32_e64 s[2:3], s18, v0
	v_cmp_gt_u32_e64 s[0:1], s18, v0
	s_and_saveexec_b64 s[24:25], s[0:1]
	s_cbranch_execz .LBB15_14
; %bb.2:
	s_load_dwordx4 s[20:23], s[4:5], 0x10
	s_load_dword s26, s[4:5], 0x20
	s_waitcnt lgkmcnt(0)
	s_mul_i32 s9, s7, s9
	s_mul_hi_u32 s19, s7, s8
	s_add_i32 s9, s19, s9
	s_mul_i32 s11, s6, s11
	s_mul_hi_u32 s19, s6, s10
	s_add_i32 s11, s19, s11
	s_mul_i32 s8, s7, s8
	s_mul_i32 s10, s6, s10
	s_cmpk_lg_i32 s16, 0x7a
	s_mov_b64 s[28:29], -1
	s_cbranch_scc0 .LBB15_6
; %bb.3:
	s_ashr_i32 s27, s26, 31
	s_lshl_b32 s19, s18, 4
	s_ashr_i32 s28, s18, 31
	s_add_u32 s30, s18, -1
	s_addc_u32 s28, s28, -1
	s_mul_i32 s29, s30, s27
	s_mul_hi_u32 s31, s30, s26
	s_add_i32 s29, s31, s29
	s_mul_i32 s28, s28, s26
	s_add_i32 s29, s29, s28
	s_mul_i32 s28, s30, s26
	s_lshl_b64 s[28:29], s[28:29], 4
	s_lshl_b64 s[30:31], s[10:11], 4
	s_add_u32 s30, s28, s30
	s_addc_u32 s31, s29, s31
	s_lshl_b64 s[28:29], s[8:9], 4
	s_add_u32 s30, s30, s28
	s_addc_u32 s31, s31, s29
	;; [unrolled: 3-line block ×3, first 2 shown]
	s_add_u32 s28, s20, s28
	s_addc_u32 s29, s21, s29
	s_lshl_b64 s[30:31], s[26:27], 4
	v_lshlrev_b32_e32 v2, 4, v0
	s_sub_u32 s27, 0, s30
	v_sub_u32_e32 v1, s19, v2
	v_mov_b32_e32 v3, s29
	v_add_co_u32_e32 v2, vcc, s28, v2
	s_subb_u32 s30, 0, s31
	v_add_u32_e32 v1, -16, v1
	v_addc_co_u32_e32 v3, vcc, 0, v3, vcc
	s_mov_b64 s[28:29], 0
	v_mov_b32_e32 v4, s30
	s_mov_b32 s30, s18
.LBB15_4:                               ; =>This Inner Loop Header: Depth=1
	global_load_dwordx4 v[6:9], v[2:3], off
	v_add_co_u32_e32 v2, vcc, s27, v2
	s_add_i32 s30, s30, -1
	v_addc_co_u32_e32 v3, vcc, v3, v4, vcc
	v_cmp_le_i32_e32 vcc, s30, v0
	s_or_b64 s[28:29], vcc, s[28:29]
	s_waitcnt vmcnt(0)
	ds_write2_b64 v1, v[6:7], v[8:9] offset1:1
	v_add_u32_e32 v1, s19, v1
	s_andn2_b64 exec, exec, s[28:29]
	s_cbranch_execnz .LBB15_4
; %bb.5:
	s_or_b64 exec, exec, s[28:29]
	s_mov_b64 s[28:29], 0
.LBB15_6:
	s_and_b64 vcc, exec, s[28:29]
	s_cbranch_vccz .LBB15_14
; %bb.7:
	v_mov_b32_e32 v1, 0
	s_ashr_i32 s27, s26, 31
	v_add_u32_e32 v4, 1, v0
	v_cmp_lt_u32_e32 vcc, 2, v0
	s_and_saveexec_b64 s[28:29], vcc
	s_cbranch_execz .LBB15_11
; %bb.8:
	s_lshl_b64 s[30:31], s[8:9], 4
	s_add_u32 s19, s20, s30
	s_addc_u32 s33, s21, s31
	s_lshl_b64 s[30:31], s[22:23], 4
	s_add_u32 s19, s19, s30
	s_addc_u32 s33, s33, s31
	;; [unrolled: 3-line block ×3, first 2 shown]
	v_lshlrev_b32_e32 v5, 4, v0
	v_mov_b32_e32 v1, s30
	v_add_co_u32_e32 v2, vcc, s19, v5
	s_mul_hi_i32 s44, s26, 48
	s_lshl_b64 s[30:31], s[26:27], 6
	s_lshl_b64 s[34:35], s[26:27], 5
	s_lshl_b64 s[36:37], s[26:27], 4
	v_addc_co_u32_e32 v3, vcc, 0, v1, vcc
	v_and_b32_e32 v1, 0x7fc, v4
	s_mul_i32 s19, s26, 48
	s_lshl_b32 s33, s18, 4
	s_lshl_b32 s40, s18, 6
	;; [unrolled: 1-line block ×3, first 2 shown]
	s_mul_i32 s42, s18, 48
	s_mov_b32 s43, 0
	s_mov_b64 s[38:39], 0
	v_mov_b32_e32 v6, s37
	v_mov_b32_e32 v7, s35
	;; [unrolled: 1-line block ×4, first 2 shown]
.LBB15_9:                               ; =>This Inner Loop Header: Depth=1
	v_add_co_u32_e32 v26, vcc, s36, v2
	v_addc_co_u32_e32 v27, vcc, v3, v6, vcc
	v_add_co_u32_e32 v28, vcc, s34, v2
	v_addc_co_u32_e32 v29, vcc, v3, v7, vcc
	global_load_dwordx4 v[10:13], v[2:3], off
	v_add_co_u32_e32 v30, vcc, s19, v2
	v_addc_co_u32_e32 v31, vcc, v3, v8, vcc
	global_load_dwordx4 v[14:17], v[26:27], off
	global_load_dwordx4 v[18:21], v[28:29], off
	;; [unrolled: 1-line block ×3, first 2 shown]
	v_add_co_u32_e32 v2, vcc, s30, v2
	s_add_i32 s43, s43, 4
	v_addc_co_u32_e32 v3, vcc, v3, v9, vcc
	v_cmp_eq_u32_e32 vcc, s43, v1
	v_add_u32_e32 v26, s33, v5
	v_add_u32_e32 v27, s41, v5
	;; [unrolled: 1-line block ×3, first 2 shown]
	s_or_b64 s[38:39], vcc, s[38:39]
	s_waitcnt vmcnt(3)
	ds_write2_b64 v5, v[10:11], v[12:13] offset1:1
	v_add_u32_e32 v5, s40, v5
	s_waitcnt vmcnt(2)
	ds_write2_b64 v26, v[14:15], v[16:17] offset1:1
	s_waitcnt vmcnt(1)
	ds_write2_b64 v27, v[18:19], v[20:21] offset1:1
	;; [unrolled: 2-line block ×3, first 2 shown]
	s_andn2_b64 exec, exec, s[38:39]
	s_cbranch_execnz .LBB15_9
; %bb.10:
	s_or_b64 exec, exec, s[38:39]
.LBB15_11:
	s_or_b64 exec, exec, s[28:29]
	v_and_b32_e32 v4, 3, v4
	v_cmp_ne_u32_e32 vcc, 0, v4
	s_and_b64 exec, exec, vcc
	s_cbranch_execz .LBB15_14
; %bb.12:
	s_lshl_b32 s19, s18, 4
	s_lshl_b64 s[10:11], s[10:11], 4
	s_lshl_b64 s[8:9], s[8:9], 4
	v_mul_lo_u32 v2, v1, s18
	s_add_u32 s10, s10, s8
	v_add_lshl_u32 v5, v0, v2, 4
	s_addc_u32 s11, s11, s9
	v_mad_i64_i32 v[2:3], s[8:9], s26, v1, 0
	s_lshl_b64 s[8:9], s[22:23], 4
	s_add_u32 s8, s8, s10
	v_lshlrev_b64 v[2:3], 4, v[2:3]
	s_addc_u32 s9, s9, s11
	v_mov_b32_e32 v1, s9
	v_add_co_u32_e32 v2, vcc, s8, v2
	v_addc_co_u32_e32 v1, vcc, v1, v3, vcc
	v_lshlrev_b32_e32 v3, 4, v0
	v_add_co_u32_e32 v2, vcc, v2, v3
	v_addc_co_u32_e32 v1, vcc, 0, v1, vcc
	v_mov_b32_e32 v3, s21
	v_add_co_u32_e32 v2, vcc, s20, v2
	s_lshl_b64 s[8:9], s[26:27], 4
	v_addc_co_u32_e32 v3, vcc, v3, v1, vcc
	s_mov_b64 s[10:11], 0
	v_mov_b32_e32 v1, s9
.LBB15_13:                              ; =>This Inner Loop Header: Depth=1
	global_load_dwordx4 v[6:9], v[2:3], off
	v_add_co_u32_e32 v2, vcc, s8, v2
	v_addc_co_u32_e32 v3, vcc, v3, v1, vcc
	v_add_u32_e32 v4, -1, v4
	v_cmp_eq_u32_e32 vcc, 0, v4
	s_or_b64 s[10:11], vcc, s[10:11]
	s_waitcnt vmcnt(0)
	ds_write2_b64 v5, v[6:7], v[8:9] offset1:1
	v_add_u32_e32 v5, s19, v5
	s_andn2_b64 exec, exec, s[10:11]
	s_cbranch_execnz .LBB15_13
.LBB15_14:
	s_or_b64 exec, exec, s[24:25]
	s_waitcnt lgkmcnt(0)
	s_barrier
	s_waitcnt lgkmcnt(0)
                                        ; implicit-def: $vgpr10
	s_and_saveexec_b64 s[8:9], s[2:3]
	s_xor_b64 s[2:3], exec, s[8:9]
; %bb.15:
	v_mad_u64_u32 v[10:11], s[8:9], v0, s18, v[0:1]
; %bb.16:
	s_andn2_saveexec_b64 s[8:9], s[2:3]
	s_cbranch_execz .LBB15_27
; %bb.17:
	v_mad_u64_u32 v[10:11], s[2:3], v0, s18, v[0:1]
	s_cmpk_eq_i32 s17, 0x84
	v_lshlrev_b32_e32 v1, 4, v10
	s_cbranch_scc1 .LBB15_25
; %bb.18:
	ds_read_b128 v[2:5], v1
	v_mov_b32_e32 v6, 0
	v_pk_mov_b32 v[8:9], 0, 0
	v_mov_b32_e32 v7, 0x3ff00000
	s_waitcnt lgkmcnt(0)
	v_cmp_neq_f64_e32 vcc, 0, v[2:3]
	v_cmp_neq_f64_e64 s[2:3], 0, v[4:5]
	s_or_b64 s[10:11], vcc, s[2:3]
	s_and_saveexec_b64 s[2:3], s[10:11]
	s_cbranch_execz .LBB15_24
; %bb.19:
	v_xor_b32_e32 v6, 0x80000000, v3
	v_cmp_gt_f64_e32 vcc, 0, v[2:3]
	v_cndmask_b32_e32 v7, v3, v6, vcc
	v_cndmask_b32_e32 v6, v2, v2, vcc
	v_xor_b32_e32 v8, 0x80000000, v5
	v_cmp_gt_f64_e32 vcc, 0, v[4:5]
	v_cndmask_b32_e32 v9, v5, v8, vcc
	v_cndmask_b32_e32 v8, v4, v4, vcc
	v_cmp_ngt_f64_e32 vcc, v[6:7], v[8:9]
                                        ; implicit-def: $vgpr8_vgpr9
	s_and_saveexec_b64 s[10:11], vcc
	s_xor_b64 s[10:11], exec, s[10:11]
	s_cbranch_execz .LBB15_21
; %bb.20:
	v_div_scale_f64 v[6:7], s[20:21], v[4:5], v[4:5], v[2:3]
	v_rcp_f64_e32 v[8:9], v[6:7]
	v_div_scale_f64 v[12:13], vcc, v[2:3], v[4:5], v[2:3]
	v_fma_f64 v[14:15], -v[6:7], v[8:9], 1.0
	v_fmac_f64_e32 v[8:9], v[8:9], v[14:15]
	v_fma_f64 v[14:15], -v[6:7], v[8:9], 1.0
	v_fmac_f64_e32 v[8:9], v[8:9], v[14:15]
	v_mul_f64 v[14:15], v[12:13], v[8:9]
	v_fma_f64 v[6:7], -v[6:7], v[14:15], v[12:13]
	v_div_fmas_f64 v[6:7], v[6:7], v[8:9], v[14:15]
	v_div_fixup_f64 v[6:7], v[6:7], v[4:5], v[2:3]
	v_fmac_f64_e32 v[4:5], v[2:3], v[6:7]
	v_div_scale_f64 v[2:3], s[20:21], v[4:5], v[4:5], 1.0
	v_rcp_f64_e32 v[8:9], v[2:3]
	v_fma_f64 v[12:13], -v[2:3], v[8:9], 1.0
	v_fmac_f64_e32 v[8:9], v[8:9], v[12:13]
	v_fma_f64 v[12:13], -v[2:3], v[8:9], 1.0
	v_fmac_f64_e32 v[8:9], v[8:9], v[12:13]
	v_div_scale_f64 v[12:13], vcc, 1.0, v[4:5], 1.0
	v_mul_f64 v[14:15], v[12:13], v[8:9]
	v_fma_f64 v[2:3], -v[2:3], v[14:15], v[12:13]
	s_nop 1
	v_div_fmas_f64 v[2:3], v[2:3], v[8:9], v[14:15]
	v_div_fixup_f64 v[8:9], v[2:3], v[4:5], 1.0
	v_mul_f64 v[6:7], v[6:7], v[8:9]
	v_xor_b32_e32 v9, 0x80000000, v9
                                        ; implicit-def: $vgpr2_vgpr3
.LBB15_21:
	s_andn2_saveexec_b64 s[10:11], s[10:11]
	s_cbranch_execz .LBB15_23
; %bb.22:
	v_div_scale_f64 v[6:7], s[20:21], v[2:3], v[2:3], v[4:5]
	v_rcp_f64_e32 v[8:9], v[6:7]
	v_div_scale_f64 v[12:13], vcc, v[4:5], v[2:3], v[4:5]
	v_fma_f64 v[14:15], -v[6:7], v[8:9], 1.0
	v_fmac_f64_e32 v[8:9], v[8:9], v[14:15]
	v_fma_f64 v[14:15], -v[6:7], v[8:9], 1.0
	v_fmac_f64_e32 v[8:9], v[8:9], v[14:15]
	v_mul_f64 v[14:15], v[12:13], v[8:9]
	v_fma_f64 v[6:7], -v[6:7], v[14:15], v[12:13]
	v_div_fmas_f64 v[6:7], v[6:7], v[8:9], v[14:15]
	v_div_fixup_f64 v[8:9], v[6:7], v[2:3], v[4:5]
	v_fmac_f64_e32 v[2:3], v[4:5], v[8:9]
	v_div_scale_f64 v[4:5], s[20:21], v[2:3], v[2:3], 1.0
	v_rcp_f64_e32 v[6:7], v[4:5]
	v_fma_f64 v[12:13], -v[4:5], v[6:7], 1.0
	v_fmac_f64_e32 v[6:7], v[6:7], v[12:13]
	v_fma_f64 v[12:13], -v[4:5], v[6:7], 1.0
	v_fmac_f64_e32 v[6:7], v[6:7], v[12:13]
	v_div_scale_f64 v[12:13], vcc, 1.0, v[2:3], 1.0
	v_mul_f64 v[14:15], v[12:13], v[6:7]
	v_fma_f64 v[4:5], -v[4:5], v[14:15], v[12:13]
	s_nop 1
	v_div_fmas_f64 v[4:5], v[4:5], v[6:7], v[14:15]
	v_div_fixup_f64 v[6:7], v[4:5], v[2:3], 1.0
	v_mul_f64 v[8:9], v[8:9], -v[6:7]
.LBB15_23:
	s_or_b64 exec, exec, s[10:11]
.LBB15_24:
	s_or_b64 exec, exec, s[2:3]
	s_branch .LBB15_26
.LBB15_25:
	v_mov_b32_e32 v6, 0
	v_mov_b32_e32 v7, 0x3ff00000
	v_pk_mov_b32 v[8:9], 0, 0
.LBB15_26:
	ds_write_b128 v1, v[6:9]
.LBB15_27:
	s_or_b64 exec, exec, s[8:9]
	s_lshl_b32 s19, s18, 4
	v_lshlrev_b32_e32 v1, 4, v10
	s_mov_b32 s8, 16
	s_add_i32 s9, s19, 16
	v_add_lshl_u32 v6, v0, s18, 4
	s_mov_b32 s10, 0
	s_waitcnt lgkmcnt(0)
	s_barrier
	s_branch .LBB15_29
.LBB15_28:                              ;   in Loop: Header=BB15_29 Depth=1
	s_add_i32 s8, s8, s9
	s_cmp_eq_u32 s10, s18
	v_add_u32_e32 v6, s19, v6
	s_barrier
	s_cbranch_scc1 .LBB15_38
.LBB15_29:                              ; =>This Loop Header: Depth=1
                                        ;     Child Loop BB15_34 Depth 2
	v_pk_mov_b32 v[2:3], 0, 0
	s_mul_i32 s11, s10, s18
	v_cmp_lt_u32_e32 vcc, s10, v0
	v_add_lshl_u32 v7, s11, v0, 4
	v_pk_mov_b32 v[4:5], v[2:3], v[2:3] op_sel:[0,1]
	s_and_saveexec_b64 s[2:3], vcc
	s_cbranch_execz .LBB15_31
; %bb.30:                               ;   in Loop: Header=BB15_29 Depth=1
	s_add_i32 s11, s11, s10
	s_lshl_b32 s11, s11, 4
	v_mov_b32_e32 v2, s11
	ds_read_b128 v[2:5], v2
	ds_read_b128 v[8:11], v7
	s_waitcnt lgkmcnt(0)
	v_mul_f64 v[12:13], v[4:5], v[10:11]
	v_mul_f64 v[10:11], v[2:3], v[10:11]
	v_fma_f64 v[2:3], v[2:3], v[8:9], -v[12:13]
	v_fmac_f64_e32 v[10:11], v[4:5], v[8:9]
	v_add_f64 v[2:3], v[2:3], 0
	v_add_f64 v[4:5], v[10:11], 0
.LBB15_31:                              ;   in Loop: Header=BB15_29 Depth=1
	s_or_b64 exec, exec, s[2:3]
	s_add_i32 s10, s10, 1
	s_cmp_ge_i32 s10, s18
	s_barrier
	s_cbranch_scc1 .LBB15_28
; %bb.32:                               ;   in Loop: Header=BB15_29 Depth=1
	v_mov_b32_e32 v8, v6
	s_mov_b32 s11, s8
	s_mov_b32 s17, s10
	s_branch .LBB15_34
.LBB15_33:                              ;   in Loop: Header=BB15_34 Depth=2
	s_or_b64 exec, exec, s[2:3]
	s_add_i32 s17, s17, 1
	s_add_i32 s11, s11, 16
	s_cmp_ge_i32 s17, s18
	v_add_u32_e32 v8, s19, v8
	s_barrier
	s_cbranch_scc1 .LBB15_28
.LBB15_34:                              ;   Parent Loop BB15_29 Depth=1
                                        ; =>  This Inner Loop Header: Depth=2
	v_cmp_eq_u32_e32 vcc, s17, v0
	s_and_saveexec_b64 s[2:3], vcc
	s_cbranch_execz .LBB15_36
; %bb.35:                               ;   in Loop: Header=BB15_34 Depth=2
	ds_read_b128 v[10:13], v1
	v_add_f64 v[16:17], -v[2:3], 0
	s_waitcnt lgkmcnt(0)
	v_mul_f64 v[14:15], v[4:5], v[12:13]
	v_mul_f64 v[18:19], v[4:5], v[10:11]
	v_fmac_f64_e32 v[14:15], v[16:17], v[10:11]
	v_fma_f64 v[16:17], v[16:17], v[12:13], -v[18:19]
	ds_write_b128 v7, v[14:17]
.LBB15_36:                              ;   in Loop: Header=BB15_34 Depth=2
	s_or_b64 exec, exec, s[2:3]
	v_cmp_lt_u32_e32 vcc, s17, v0
	s_waitcnt lgkmcnt(0)
	s_barrier
	s_and_saveexec_b64 s[2:3], vcc
	s_cbranch_execz .LBB15_33
; %bb.37:                               ;   in Loop: Header=BB15_34 Depth=2
	v_mov_b32_e32 v9, s11
	ds_read_b128 v[10:13], v8
	ds_read_b128 v[14:17], v9
	s_waitcnt lgkmcnt(0)
	v_mul_f64 v[18:19], v[16:17], v[12:13]
	v_mul_f64 v[12:13], v[14:15], v[12:13]
	v_fma_f64 v[14:15], v[14:15], v[10:11], -v[18:19]
	v_fmac_f64_e32 v[12:13], v[16:17], v[10:11]
	v_add_f64 v[2:3], v[2:3], v[14:15]
	v_add_f64 v[4:5], v[4:5], v[12:13]
	s_branch .LBB15_33
.LBB15_38:
	s_and_saveexec_b64 s[2:3], s[0:1]
	s_cbranch_execz .LBB15_51
; %bb.39:
	s_load_dwordx4 s[8:11], s[4:5], 0x50
	s_load_dword s0, s[4:5], 0x48
	v_lshlrev_b32_e32 v1, 4, v0
	s_waitcnt lgkmcnt(0)
	s_mul_i32 s1, s7, s9
	s_mul_hi_u32 s3, s7, s8
	s_mul_i32 s4, s6, s11
	s_add_i32 s3, s3, s1
	s_mul_hi_u32 s1, s6, s10
	s_add_i32 s5, s1, s4
	s_mul_i32 s2, s7, s8
	s_mul_i32 s4, s6, s10
	s_mov_b64 s[6:7], -1
	s_cmpk_lg_i32 s16, 0x7a
	s_cbranch_scc0 .LBB15_43
; %bb.40:
	s_add_i32 s10, s18, -1
	s_ashr_i32 s1, s0, 31
	s_lshl_b64 s[6:7], s[4:5], 4
	s_lshl_b64 s[8:9], s[2:3], 4
	s_add_u32 s8, s6, s8
	s_addc_u32 s9, s7, s9
	s_mul_i32 s6, s1, s10
	s_mul_hi_u32 s7, s0, s10
	s_add_i32 s7, s7, s6
	s_mul_i32 s6, s0, s10
	s_lshl_b64 s[6:7], s[6:7], 4
	s_add_u32 s8, s8, s6
	s_addc_u32 s9, s9, s7
	s_lshl_b64 s[6:7], s[14:15], 4
	s_add_u32 s6, s8, s6
	s_addc_u32 s7, s9, s7
	s_add_u32 s6, s12, s6
	s_addc_u32 s7, s13, s7
	s_lshl_b64 s[8:9], s[0:1], 4
	v_lshlrev_b32_e32 v4, 4, v0
	s_sub_u32 s1, 0, s8
	v_mov_b32_e32 v3, s7
	v_add_co_u32_e32 v2, vcc, s6, v4
	s_subb_u32 s8, 0, s9
	v_sub_u32_e32 v4, s19, v4
	v_addc_co_u32_e32 v3, vcc, 0, v3, vcc
	s_mov_b64 s[6:7], 0
	v_add_u32_e32 v4, -16, v4
	v_mov_b32_e32 v5, s8
	s_mov_b32 s8, s18
.LBB15_41:                              ; =>This Inner Loop Header: Depth=1
	ds_read2_b64 v[6:9], v4 offset1:1
	s_add_i32 s8, s8, -1
	v_cmp_le_i32_e32 vcc, s8, v0
	s_or_b64 s[6:7], vcc, s[6:7]
	v_add_u32_e32 v4, s19, v4
	s_waitcnt lgkmcnt(0)
	global_store_dwordx4 v[2:3], v[6:9], off
	v_add_co_u32_e32 v2, vcc, s1, v2
	v_addc_co_u32_e32 v3, vcc, v3, v5, vcc
	s_andn2_b64 exec, exec, s[6:7]
	s_cbranch_execnz .LBB15_41
; %bb.42:
	s_or_b64 exec, exec, s[6:7]
	s_mov_b64 s[6:7], 0
.LBB15_43:
	s_and_b64 vcc, exec, s[6:7]
	s_cbranch_vccz .LBB15_51
; %bb.44:
	v_mov_b32_e32 v4, 0
	s_ashr_i32 s1, s0, 31
	v_add_u32_e32 v5, 1, v0
	v_cmp_lt_u32_e32 vcc, 2, v0
	s_and_saveexec_b64 s[6:7], vcc
	s_cbranch_execz .LBB15_48
; %bb.45:
	s_lshl_b64 s[8:9], s[2:3], 4
	s_add_u32 s10, s12, s8
	s_addc_u32 s11, s13, s9
	s_lshl_b64 s[8:9], s[14:15], 4
	s_add_u32 s10, s10, s8
	s_addc_u32 s11, s11, s9
	;; [unrolled: 3-line block ×3, first 2 shown]
	v_mov_b32_e32 v3, s9
	v_add_co_u32_e32 v2, vcc, s8, v1
	s_mul_hi_i32 s27, s0, 48
	s_lshl_b64 s[8:9], s[0:1], 6
	s_lshl_b64 s[10:11], s[0:1], 5
	s_lshl_b64 s[16:17], s[0:1], 4
	v_addc_co_u32_e32 v3, vcc, 0, v3, vcc
	v_and_b32_e32 v4, 0x7fc, v5
	s_mul_i32 s22, s0, 48
	s_lshl_b32 s23, s18, 6
	s_lshl_b32 s24, s18, 5
	s_mul_i32 s25, s18, 48
	s_mov_b32 s26, 0
	s_mov_b64 s[20:21], 0
	v_mov_b32_e32 v6, s17
	v_mov_b32_e32 v7, s11
	;; [unrolled: 1-line block ×5, first 2 shown]
.LBB15_46:                              ; =>This Inner Loop Header: Depth=1
	v_add_co_u32_e32 v28, vcc, s16, v2
	v_addc_co_u32_e32 v29, vcc, v3, v6, vcc
	ds_read2_b64 v[12:15], v10 offset1:1
	v_add_co_u32_e32 v30, vcc, s10, v2
	v_add_u32_e32 v11, s19, v10
	v_add_u32_e32 v20, s24, v10
	v_addc_co_u32_e32 v31, vcc, v3, v7, vcc
	v_add_u32_e32 v24, s25, v10
	v_add_co_u32_e32 v32, vcc, s22, v2
	ds_read2_b64 v[16:19], v11 offset1:1
	ds_read2_b64 v[20:23], v20 offset1:1
	;; [unrolled: 1-line block ×3, first 2 shown]
	v_addc_co_u32_e32 v33, vcc, v3, v8, vcc
	s_add_i32 s26, s26, 4
	v_cmp_eq_u32_e32 vcc, s26, v4
	s_or_b64 s[20:21], vcc, s[20:21]
	s_waitcnt lgkmcnt(3)
	global_store_dwordx4 v[2:3], v[12:15], off
	v_add_co_u32_e32 v2, vcc, s8, v2
	v_add_u32_e32 v10, s23, v10
	v_addc_co_u32_e32 v3, vcc, v3, v9, vcc
	s_waitcnt lgkmcnt(2)
	global_store_dwordx4 v[28:29], v[16:19], off
	s_waitcnt lgkmcnt(1)
	global_store_dwordx4 v[30:31], v[20:23], off
	;; [unrolled: 2-line block ×3, first 2 shown]
	s_andn2_b64 exec, exec, s[20:21]
	s_cbranch_execnz .LBB15_46
; %bb.47:
	s_or_b64 exec, exec, s[20:21]
.LBB15_48:
	s_or_b64 exec, exec, s[6:7]
	v_and_b32_e32 v5, 3, v5
	v_cmp_ne_u32_e32 vcc, 0, v5
	s_and_b64 exec, exec, vcc
	s_cbranch_execz .LBB15_51
; %bb.49:
	s_lshl_b64 s[4:5], s[4:5], 4
	s_lshl_b64 s[2:3], s[2:3], 4
	s_add_u32 s4, s4, s2
	s_addc_u32 s5, s5, s3
	v_mad_i64_i32 v[2:3], s[2:3], s0, v4, 0
	s_lshl_b64 s[2:3], s[14:15], 4
	s_add_u32 s2, s2, s4
	v_lshlrev_b64 v[2:3], 4, v[2:3]
	s_addc_u32 s3, s3, s5
	v_mov_b32_e32 v6, s3
	v_add_co_u32_e32 v2, vcc, s2, v2
	v_addc_co_u32_e32 v3, vcc, v6, v3, vcc
	v_add_co_u32_e32 v1, vcc, v2, v1
	v_addc_co_u32_e32 v3, vcc, 0, v3, vcc
	v_mov_b32_e32 v6, s13
	v_add_co_u32_e32 v2, vcc, s12, v1
	s_lshl_b64 s[0:1], s[0:1], 4
	v_mul_lo_u32 v1, v4, s18
	v_addc_co_u32_e32 v3, vcc, v6, v3, vcc
	v_add_lshl_u32 v0, v0, v1, 4
	s_mov_b64 s[2:3], 0
	v_mov_b32_e32 v1, s1
.LBB15_50:                              ; =>This Inner Loop Header: Depth=1
	ds_read2_b64 v[6:9], v0 offset1:1
	v_add_u32_e32 v5, -1, v5
	v_cmp_eq_u32_e32 vcc, 0, v5
	s_or_b64 s[2:3], vcc, s[2:3]
	v_add_u32_e32 v0, s19, v0
	s_waitcnt lgkmcnt(0)
	global_store_dwordx4 v[2:3], v[6:9], off
	v_add_co_u32_e32 v2, vcc, s0, v2
	v_addc_co_u32_e32 v3, vcc, v3, v1, vcc
	s_andn2_b64 exec, exec, s[2:3]
	s_cbranch_execnz .LBB15_50
.LBB15_51:
	s_endpgm
	.section	.rodata,"a",@progbits
	.p2align	6, 0x0
	.amdhsa_kernel _ZL30rocblas_trtri_remainder_kernelILi16E19rocblas_complex_numIdEPKS1_PS1_Ev13rocblas_fill_17rocblas_diagonal_iT1_lillT2_lilli
		.amdhsa_group_segment_fixed_size 16384
		.amdhsa_private_segment_fixed_size 0
		.amdhsa_kernarg_size 100
		.amdhsa_user_sgpr_count 6
		.amdhsa_user_sgpr_private_segment_buffer 1
		.amdhsa_user_sgpr_dispatch_ptr 0
		.amdhsa_user_sgpr_queue_ptr 0
		.amdhsa_user_sgpr_kernarg_segment_ptr 1
		.amdhsa_user_sgpr_dispatch_id 0
		.amdhsa_user_sgpr_flat_scratch_init 0
		.amdhsa_user_sgpr_kernarg_preload_length 0
		.amdhsa_user_sgpr_kernarg_preload_offset 0
		.amdhsa_user_sgpr_private_segment_size 0
		.amdhsa_uses_dynamic_stack 0
		.amdhsa_system_sgpr_private_segment_wavefront_offset 0
		.amdhsa_system_sgpr_workgroup_id_x 1
		.amdhsa_system_sgpr_workgroup_id_y 0
		.amdhsa_system_sgpr_workgroup_id_z 1
		.amdhsa_system_sgpr_workgroup_info 0
		.amdhsa_system_vgpr_workitem_id 0
		.amdhsa_next_free_vgpr 34
		.amdhsa_next_free_sgpr 45
		.amdhsa_accum_offset 36
		.amdhsa_reserve_vcc 1
		.amdhsa_reserve_flat_scratch 0
		.amdhsa_float_round_mode_32 0
		.amdhsa_float_round_mode_16_64 0
		.amdhsa_float_denorm_mode_32 3
		.amdhsa_float_denorm_mode_16_64 3
		.amdhsa_dx10_clamp 1
		.amdhsa_ieee_mode 1
		.amdhsa_fp16_overflow 0
		.amdhsa_tg_split 0
		.amdhsa_exception_fp_ieee_invalid_op 0
		.amdhsa_exception_fp_denorm_src 0
		.amdhsa_exception_fp_ieee_div_zero 0
		.amdhsa_exception_fp_ieee_overflow 0
		.amdhsa_exception_fp_ieee_underflow 0
		.amdhsa_exception_fp_ieee_inexact 0
		.amdhsa_exception_int_div_zero 0
	.end_amdhsa_kernel
	.section	.text._ZL30rocblas_trtri_remainder_kernelILi16E19rocblas_complex_numIdEPKS1_PS1_Ev13rocblas_fill_17rocblas_diagonal_iT1_lillT2_lilli,"axG",@progbits,_ZL30rocblas_trtri_remainder_kernelILi16E19rocblas_complex_numIdEPKS1_PS1_Ev13rocblas_fill_17rocblas_diagonal_iT1_lillT2_lilli,comdat
.Lfunc_end15:
	.size	_ZL30rocblas_trtri_remainder_kernelILi16E19rocblas_complex_numIdEPKS1_PS1_Ev13rocblas_fill_17rocblas_diagonal_iT1_lillT2_lilli, .Lfunc_end15-_ZL30rocblas_trtri_remainder_kernelILi16E19rocblas_complex_numIdEPKS1_PS1_Ev13rocblas_fill_17rocblas_diagonal_iT1_lillT2_lilli
                                        ; -- End function
	.section	.AMDGPU.csdata,"",@progbits
; Kernel info:
; codeLenInByte = 2512
; NumSgprs: 49
; NumVgprs: 34
; NumAgprs: 0
; TotalNumVgprs: 34
; ScratchSize: 0
; MemoryBound: 0
; FloatMode: 240
; IeeeMode: 1
; LDSByteSize: 16384 bytes/workgroup (compile time only)
; SGPRBlocks: 6
; VGPRBlocks: 4
; NumSGPRsForWavesPerEU: 49
; NumVGPRsForWavesPerEU: 34
; AccumOffset: 36
; Occupancy: 8
; WaveLimiterHint : 0
; COMPUTE_PGM_RSRC2:SCRATCH_EN: 0
; COMPUTE_PGM_RSRC2:USER_SGPR: 6
; COMPUTE_PGM_RSRC2:TRAP_HANDLER: 0
; COMPUTE_PGM_RSRC2:TGID_X_EN: 1
; COMPUTE_PGM_RSRC2:TGID_Y_EN: 0
; COMPUTE_PGM_RSRC2:TGID_Z_EN: 1
; COMPUTE_PGM_RSRC2:TIDIG_COMP_CNT: 0
; COMPUTE_PGM_RSRC3_GFX90A:ACCUM_OFFSET: 8
; COMPUTE_PGM_RSRC3_GFX90A:TG_SPLIT: 0
	.section	.text._ZL18rocblas_trtri_fillILi128EfPKPfEvP15_rocblas_handle13rocblas_fill_ililT1_llii,"axG",@progbits,_ZL18rocblas_trtri_fillILi128EfPKPfEvP15_rocblas_handle13rocblas_fill_ililT1_llii,comdat
	.globl	_ZL18rocblas_trtri_fillILi128EfPKPfEvP15_rocblas_handle13rocblas_fill_ililT1_llii ; -- Begin function _ZL18rocblas_trtri_fillILi128EfPKPfEvP15_rocblas_handle13rocblas_fill_ililT1_llii
	.p2align	8
	.type	_ZL18rocblas_trtri_fillILi128EfPKPfEvP15_rocblas_handle13rocblas_fill_ililT1_llii,@function
_ZL18rocblas_trtri_fillILi128EfPKPfEvP15_rocblas_handle13rocblas_fill_ililT1_llii: ; @_ZL18rocblas_trtri_fillILi128EfPKPfEvP15_rocblas_handle13rocblas_fill_ililT1_llii
; %bb.0:
	s_load_dword s1, s[4:5], 0x40
	s_load_dwordx2 s[2:3], s[4:5], 0x10
	s_mov_b32 s0, s7
	s_waitcnt lgkmcnt(0)
	s_ashr_i32 s7, s1, 31
	s_mul_i32 s8, s1, s3
	s_mul_hi_u32 s9, s1, s2
	s_add_i32 s8, s9, s8
	s_mul_i32 s7, s7, s2
	s_add_i32 s13, s8, s7
	s_mov_b32 s7, 0
	s_lshl_b64 s[8:9], s[6:7], 7
	s_mul_i32 s12, s1, s2
	v_or_b32_e32 v0, s8, v0
	v_mov_b32_e32 v1, s9
	v_cmp_gt_u64_e32 vcc, s[12:13], v[0:1]
	s_and_saveexec_b64 s[8:9], vcc
	s_cbranch_execz .LBB16_16
; %bb.1:
	s_load_dword s6, s[4:5], 0x18
	s_load_dwordx4 s[8:11], s[4:5], 0x20
	s_load_dwordx2 s[14:15], s[4:5], 0x30
	s_mov_b32 s1, s7
	s_lshl_b64 s[0:1], s[0:1], 3
	s_waitcnt lgkmcnt(0)
	s_ashr_i32 s7, s6, 31
	s_add_u32 s0, s10, s0
	s_addc_u32 s1, s11, s1
	s_load_dwordx2 s[16:17], s[0:1], 0x0
	s_load_dwordx2 s[10:11], s[4:5], 0x8
	s_lshl_b64 s[0:1], s[14:15], 2
	v_cvt_f32_u32_e32 v4, s2
	v_cvt_f32_u32_e32 v5, s3
	s_waitcnt lgkmcnt(0)
	s_add_u32 s20, s16, s0
	s_addc_u32 s21, s17, s1
	s_add_i32 s0, s11, -2
	v_cvt_f64_i32_e32 v[2:3], s0
	s_add_i32 s0, s11, -1
	s_mul_hi_i32 s1, s0, s11
	s_mul_i32 s0, s0, s11
	s_ashr_i32 s22, s11, 31
	s_lshl_b64 s[14:15], s[0:1], 2
	s_mov_b32 s23, s11
	s_add_u32 s11, s14, -7
	s_load_dword s14, s[4:5], 0x48
	s_load_dword s16, s[4:5], 0x54
	v_madmk_f32 v4, v5, 0x4f800000, v4
	v_rcp_f32_e32 v5, v4
	v_cvt_f32_u32_e32 v7, s2
	s_addc_u32 s24, s15, -1
	s_lshr_b64 s[4:5], s[0:1], 1
	v_mul_f32_e32 v5, 0x5f7ffffc, v5
	v_mul_f32_e32 v6, 0x2f800000, v5
	v_trunc_f32_e32 v6, v6
	v_madmk_f32 v5, v6, 0xcf800000, v5
	v_cvt_u32_f32_e32 v12, v5
	v_rcp_iflag_f32_e32 v5, v7
	v_cvt_u32_f32_e32 v13, v6
	s_waitcnt lgkmcnt(0)
	s_and_b32 s0, s16, 0xffff
	s_mov_b32 s16, 0
	v_mul_f32_e32 v5, 0x4f7ffffe, v5
	v_cvt_u32_f32_e32 v14, v5
	s_mul_hi_u32 s25, s0, s14
	s_mul_i32 s26, s0, s14
	s_mov_b64 s[14:15], 0
	v_mov_b32_e32 v4, 0
	s_brev_b32 s17, 8
	v_mov_b32_e32 v15, 0x260
	s_movk_i32 s27, 0xffe0
	v_mov_b32_e32 v16, 0xffffff80
	s_branch .LBB16_3
.LBB16_2:                               ;   in Loop: Header=BB16_3 Depth=1
	v_mov_b32_e32 v5, s25
	v_add_co_u32_e32 v0, vcc, s26, v0
	v_addc_co_u32_e32 v1, vcc, v1, v5, vcc
	v_cmp_le_u64_e32 vcc, s[12:13], v[0:1]
	s_or_b64 s[14:15], vcc, s[14:15]
	s_andn2_b64 exec, exec, s[14:15]
	s_cbranch_execz .LBB16_16
.LBB16_3:                               ; =>This Inner Loop Header: Depth=1
	v_or_b32_e32 v5, s3, v1
	v_cmp_ne_u64_e32 vcc, 0, v[4:5]
                                        ; implicit-def: $vgpr6_vgpr7
	s_and_saveexec_b64 s[0:1], vcc
	s_xor_b64 s[18:19], exec, s[0:1]
	s_cbranch_execz .LBB16_5
; %bb.4:                                ;   in Loop: Header=BB16_3 Depth=1
	s_sub_u32 s0, 0, s2
	s_subb_u32 s1, 0, s3
	v_mul_hi_u32 v6, s0, v12
	v_mul_lo_u32 v7, s0, v13
	v_mul_lo_u32 v5, s1, v12
	v_add_u32_e32 v6, v6, v7
	v_add_u32_e32 v5, v6, v5
	v_mul_lo_u32 v8, s0, v12
	v_mul_lo_u32 v7, v12, v5
	v_mul_hi_u32 v9, v12, v8
	v_mul_hi_u32 v6, v12, v5
	v_add_co_u32_e32 v7, vcc, v9, v7
	v_addc_co_u32_e32 v6, vcc, 0, v6, vcc
	v_mul_hi_u32 v10, v13, v8
	v_mul_lo_u32 v8, v13, v8
	v_add_co_u32_e32 v7, vcc, v7, v8
	v_mul_hi_u32 v9, v13, v5
	v_addc_co_u32_e32 v6, vcc, v6, v10, vcc
	v_addc_co_u32_e32 v7, vcc, 0, v9, vcc
	v_mul_lo_u32 v5, v13, v5
	v_add_co_u32_e32 v5, vcc, v6, v5
	v_addc_co_u32_e32 v6, vcc, 0, v7, vcc
	v_add_co_u32_e32 v5, vcc, v12, v5
	v_addc_co_u32_e32 v6, vcc, v13, v6, vcc
	v_mul_lo_u32 v7, s0, v6
	v_mul_hi_u32 v8, s0, v5
	v_add_u32_e32 v7, v8, v7
	v_mul_lo_u32 v8, s1, v5
	v_add_u32_e32 v7, v7, v8
	v_mul_lo_u32 v9, s0, v5
	v_mul_hi_u32 v10, v6, v9
	v_mul_lo_u32 v11, v6, v9
	v_mul_lo_u32 v18, v5, v7
	v_mul_hi_u32 v9, v5, v9
	v_mul_hi_u32 v17, v5, v7
	v_add_co_u32_e32 v9, vcc, v9, v18
	v_addc_co_u32_e32 v17, vcc, 0, v17, vcc
	v_add_co_u32_e32 v9, vcc, v9, v11
	v_mul_hi_u32 v8, v6, v7
	v_addc_co_u32_e32 v9, vcc, v17, v10, vcc
	v_addc_co_u32_e32 v8, vcc, 0, v8, vcc
	v_mul_lo_u32 v7, v6, v7
	v_add_co_u32_e32 v7, vcc, v9, v7
	v_addc_co_u32_e32 v8, vcc, 0, v8, vcc
	v_add_co_u32_e32 v5, vcc, v5, v7
	v_addc_co_u32_e32 v8, vcc, v6, v8, vcc
	v_mad_u64_u32 v[6:7], s[0:1], v0, v8, 0
	v_mul_hi_u32 v9, v0, v5
	v_add_co_u32_e32 v10, vcc, v9, v6
	v_addc_co_u32_e32 v11, vcc, 0, v7, vcc
	v_mad_u64_u32 v[6:7], s[0:1], v1, v8, 0
	v_mad_u64_u32 v[8:9], s[0:1], v1, v5, 0
	v_add_co_u32_e32 v5, vcc, v10, v8
	v_addc_co_u32_e32 v5, vcc, v11, v9, vcc
	v_addc_co_u32_e32 v7, vcc, 0, v7, vcc
	v_add_co_u32_e32 v5, vcc, v5, v6
	v_addc_co_u32_e32 v8, vcc, 0, v7, vcc
	v_mul_lo_u32 v9, s3, v5
	v_mul_lo_u32 v10, s2, v8
	v_mad_u64_u32 v[6:7], s[0:1], s2, v5, 0
	v_add3_u32 v7, v7, v10, v9
	v_sub_u32_e32 v9, v1, v7
	v_mov_b32_e32 v10, s3
	v_sub_co_u32_e32 v6, vcc, v0, v6
	v_subb_co_u32_e64 v9, s[0:1], v9, v10, vcc
	v_subrev_co_u32_e64 v10, s[0:1], s2, v6
	v_subbrev_co_u32_e64 v9, s[0:1], 0, v9, s[0:1]
	v_cmp_le_u32_e64 s[0:1], s3, v9
	v_cndmask_b32_e64 v11, 0, -1, s[0:1]
	v_cmp_le_u32_e64 s[0:1], s2, v10
	v_cndmask_b32_e64 v10, 0, -1, s[0:1]
	v_cmp_eq_u32_e64 s[0:1], s3, v9
	v_cndmask_b32_e64 v9, v11, v10, s[0:1]
	v_add_co_u32_e64 v10, s[0:1], 2, v5
	v_addc_co_u32_e64 v11, s[0:1], 0, v8, s[0:1]
	v_add_co_u32_e64 v17, s[0:1], 1, v5
	v_addc_co_u32_e64 v18, s[0:1], 0, v8, s[0:1]
	v_subb_co_u32_e32 v7, vcc, v1, v7, vcc
	v_cmp_ne_u32_e64 s[0:1], 0, v9
	v_cmp_le_u32_e32 vcc, s3, v7
	v_cndmask_b32_e64 v9, v18, v11, s[0:1]
	v_cndmask_b32_e64 v11, 0, -1, vcc
	v_cmp_le_u32_e32 vcc, s2, v6
	v_cndmask_b32_e64 v6, 0, -1, vcc
	v_cmp_eq_u32_e32 vcc, s3, v7
	v_cndmask_b32_e32 v6, v11, v6, vcc
	v_cmp_ne_u32_e32 vcc, 0, v6
	v_cndmask_b32_e64 v6, v17, v10, s[0:1]
	v_cndmask_b32_e32 v7, v8, v9, vcc
	v_cndmask_b32_e32 v6, v5, v6, vcc
.LBB16_5:                               ;   in Loop: Header=BB16_3 Depth=1
	s_andn2_saveexec_b64 s[0:1], s[18:19]
	s_cbranch_execz .LBB16_7
; %bb.6:                                ;   in Loop: Header=BB16_3 Depth=1
	s_sub_i32 s18, 0, s2
	v_mul_lo_u32 v5, s18, v14
	v_mul_hi_u32 v5, v14, v5
	v_add_u32_e32 v5, v14, v5
	v_mul_hi_u32 v5, v0, v5
	v_mul_lo_u32 v6, v5, s2
	v_sub_u32_e32 v6, v0, v6
	v_subrev_u32_e32 v7, s2, v6
	v_cmp_le_u32_e32 vcc, s2, v6
	v_cndmask_b32_e32 v6, v6, v7, vcc
	v_add_u32_e32 v7, 1, v5
	v_cndmask_b32_e32 v5, v5, v7, vcc
	v_add_u32_e32 v7, 1, v5
	v_cmp_le_u32_e32 vcc, s2, v6
	v_cndmask_b32_e32 v6, v5, v7, vcc
	v_mov_b32_e32 v7, v4
.LBB16_7:                               ;   in Loop: Header=BB16_3 Depth=1
	s_or_b64 exec, exec, s[0:1]
	v_mul_lo_u32 v5, v7, s2
	v_mul_lo_u32 v10, v6, s3
	v_mad_u64_u32 v[8:9], s[0:1], v6, s2, 0
	v_add3_u32 v5, v9, v10, v5
	v_sub_co_u32_e32 v8, vcc, v0, v8
	s_cmpk_lt_i32 s10, 0x7a
	v_subb_co_u32_e32 v9, vcc, v1, v5, vcc
	s_cbranch_scc1 .LBB16_10
; %bb.8:                                ;   in Loop: Header=BB16_3 Depth=1
	s_mov_b64 s[0:1], 0
	s_cmpk_eq_i32 s10, 0x7a
	s_mov_b64 s[18:19], 0
                                        ; implicit-def: $vgpr10_vgpr11
	s_cbranch_scc0 .LBB16_11
; %bb.9:                                ;   in Loop: Header=BB16_3 Depth=1
	v_lshlrev_b64 v[10:11], 3, v[8:9]
	v_mov_b32_e32 v5, s24
	v_sub_co_u32_e32 v17, vcc, s11, v10
	v_subb_co_u32_e32 v5, vcc, v5, v11, vcc
	v_cvt_f64_u32_e32 v[10:11], v5
	v_ldexp_f64 v[10:11], v[10:11], 32
	v_cvt_f64_u32_e32 v[18:19], v17
	v_add_f64 v[10:11], v[10:11], v[18:19]
	v_cmp_gt_f64_e32 vcc, s[16:17], v[10:11]
	v_cndmask_b32_e64 v5, 0, 1, vcc
	v_lshlrev_b32_e32 v5, 8, v5
	v_ldexp_f64 v[10:11], v[10:11], v5
	v_rsq_f64_e32 v[18:19], v[10:11]
	v_cndmask_b32_e32 v5, 0, v16, vcc
	v_cmp_class_f64_e32 vcc, v[10:11], v15
	v_mul_f64 v[20:21], v[10:11], v[18:19]
	v_mul_f64 v[18:19], v[18:19], 0.5
	v_fma_f64 v[22:23], -v[18:19], v[20:21], 0.5
	v_fmac_f64_e32 v[20:21], v[20:21], v[22:23]
	v_fma_f64 v[24:25], -v[20:21], v[20:21], v[10:11]
	v_fmac_f64_e32 v[18:19], v[18:19], v[22:23]
	v_fmac_f64_e32 v[20:21], v[24:25], v[18:19]
	v_fma_f64 v[22:23], -v[20:21], v[20:21], v[10:11]
	v_fmac_f64_e32 v[20:21], v[22:23], v[18:19]
	v_ldexp_f64 v[18:19], v[20:21], v5
	v_cndmask_b32_e32 v11, v19, v11, vcc
	v_cndmask_b32_e32 v10, v18, v10, vcc
	v_fma_f64 v[10:11], v[10:11], 0.5, -0.5
	v_floor_f64_e32 v[10:11], v[10:11]
	v_add_f64 v[10:11], v[2:3], -v[10:11]
	v_trunc_f64_e32 v[10:11], v[10:11]
	v_ldexp_f64 v[18:19], v[10:11], s27
	v_floor_f64_e32 v[18:19], v[18:19]
	v_fmac_f64_e32 v[10:11], 0xc1f00000, v[18:19]
	v_cvt_u32_f64_e32 v10, v[10:11]
	v_cvt_u32_f64_e32 v11, v[18:19]
	v_mov_b32_e32 v5, s5
	v_subrev_co_u32_e32 v18, vcc, s4, v8
	v_subb_co_u32_e32 v19, vcc, v9, v5, vcc
	v_mov_b32_e32 v5, s22
	v_sub_co_u32_e32 v17, vcc, s23, v10
	v_subb_co_u32_e32 v5, vcc, v5, v11, vcc
	v_add_co_u32_e32 v20, vcc, -1, v17
	v_addc_co_u32_e32 v21, vcc, -1, v5, vcc
	v_mul_lo_u32 v22, v21, v17
	v_mul_lo_u32 v5, v20, v5
	v_mad_u64_u32 v[20:21], s[18:19], v20, v17, 0
	v_add3_u32 v21, v21, v5, v22
	v_mul_lo_u32 v5, v7, s8
	v_mul_lo_u32 v17, v6, s9
	v_mad_u64_u32 v[22:23], s[18:19], v6, s8, 0
	v_add3_u32 v23, v23, v17, v5
	v_mul_lo_u32 v5, v10, s7
	v_mad_u64_u32 v[24:25], s[18:19], v10, s6, 0
	v_mul_lo_u32 v17, v11, s6
	v_lshlrev_b64 v[22:23], 2, v[22:23]
	v_add3_u32 v25, v25, v5, v17
	v_mov_b32_e32 v5, s21
	v_add_co_u32_e32 v17, vcc, s20, v22
	v_addc_co_u32_e32 v5, vcc, v5, v23, vcc
	v_lshlrev_b64 v[22:23], 2, v[24:25]
	v_add_co_u32_e32 v17, vcc, v17, v22
	v_addc_co_u32_e32 v5, vcc, v5, v23, vcc
	v_lshlrev_b64 v[18:19], 2, v[18:19]
	;; [unrolled: 3-line block ×4, first 2 shown]
	v_and_b32_e32 v10, -4, v10
	v_add_co_u32_e32 v10, vcc, v17, v10
	v_addc_co_u32_e32 v5, vcc, v5, v11, vcc
	v_add_co_u32_e32 v10, vcc, 4, v10
	v_addc_co_u32_e32 v11, vcc, 0, v5, vcc
	s_mov_b64 s[18:19], -1
	s_branch .LBB16_11
.LBB16_10:                              ;   in Loop: Header=BB16_3 Depth=1
	s_mov_b64 s[0:1], -1
	s_mov_b64 s[18:19], 0
                                        ; implicit-def: $vgpr10_vgpr11
.LBB16_11:                              ;   in Loop: Header=BB16_3 Depth=1
	s_and_b64 vcc, exec, s[0:1]
	s_cbranch_vccz .LBB16_14
; %bb.12:                               ;   in Loop: Header=BB16_3 Depth=1
	s_cmpk_eq_i32 s10, 0x79
                                        ; implicit-def: $vgpr10_vgpr11
	s_cbranch_scc0 .LBB16_14
; %bb.13:                               ;   in Loop: Header=BB16_3 Depth=1
	v_lshlrev_b64 v[10:11], 3, v[8:9]
	v_or_b32_e32 v5, 1, v10
	v_cvt_f64_u32_e32 v[10:11], v11
	v_ldexp_f64 v[10:11], v[10:11], 32
	v_cvt_f64_u32_e32 v[18:19], v5
	v_add_f64 v[10:11], v[10:11], v[18:19]
	v_cmp_gt_f64_e32 vcc, s[16:17], v[10:11]
	v_cndmask_b32_e64 v5, 0, 1, vcc
	v_lshlrev_b32_e32 v5, 8, v5
	v_ldexp_f64 v[10:11], v[10:11], v5
	v_rsq_f64_e32 v[18:19], v[10:11]
	v_cndmask_b32_e32 v5, 0, v16, vcc
	v_cmp_class_f64_e32 vcc, v[10:11], v15
	v_mul_lo_u32 v17, v6, s9
	v_mul_f64 v[20:21], v[10:11], v[18:19]
	v_mul_f64 v[18:19], v[18:19], 0.5
	v_fma_f64 v[22:23], -v[18:19], v[20:21], 0.5
	v_fmac_f64_e32 v[20:21], v[20:21], v[22:23]
	v_fma_f64 v[24:25], -v[20:21], v[20:21], v[10:11]
	v_fmac_f64_e32 v[18:19], v[18:19], v[22:23]
	v_fmac_f64_e32 v[20:21], v[24:25], v[18:19]
	v_fma_f64 v[22:23], -v[20:21], v[20:21], v[10:11]
	v_fmac_f64_e32 v[20:21], v[22:23], v[18:19]
	v_ldexp_f64 v[18:19], v[20:21], v5
	v_cndmask_b32_e32 v11, v19, v11, vcc
	v_cndmask_b32_e32 v10, v18, v10, vcc
	v_add_f64 v[10:11], v[10:11], -1.0
	v_mul_f64 v[10:11], v[10:11], 0.5
	v_trunc_f64_e32 v[10:11], v[10:11]
	v_ldexp_f64 v[18:19], v[10:11], s27
	v_floor_f64_e32 v[18:19], v[18:19]
	v_fmac_f64_e32 v[10:11], 0xc1f00000, v[18:19]
	v_cvt_u32_f64_e32 v10, v[10:11]
	v_cvt_u32_f64_e32 v11, v[18:19]
	v_mad_u64_u32 v[18:19], s[0:1], v10, v10, v[10:11]
	v_mul_lo_u32 v5, v10, v11
	v_add3_u32 v19, v5, v19, v5
	v_lshrrev_b64 v[18:19], 1, v[18:19]
	v_sub_co_u32_e32 v8, vcc, v8, v18
	v_mul_lo_u32 v5, v7, s8
	v_mad_u64_u32 v[6:7], s[0:1], v6, s8, 0
	v_subb_co_u32_e32 v9, vcc, v9, v19, vcc
	v_add3_u32 v7, v7, v17, v5
	v_pk_mov_b32 v[18:19], s[6:7], s[6:7] op_sel:[0,1]
	v_mul_lo_u32 v5, s7, v10
	v_mad_u64_u32 v[18:19], s[0:1], s6, v10, v[18:19]
	v_mul_lo_u32 v10, s6, v11
	v_lshlrev_b64 v[6:7], 2, v[6:7]
	v_add3_u32 v19, v5, v19, v10
	v_mov_b32_e32 v5, s21
	v_add_co_u32_e32 v10, vcc, s20, v6
	v_addc_co_u32_e32 v5, vcc, v5, v7, vcc
	v_lshlrev_b64 v[6:7], 2, v[18:19]
	v_add_co_u32_e32 v10, vcc, v10, v6
	v_addc_co_u32_e32 v5, vcc, v5, v7, vcc
	v_lshlrev_b64 v[6:7], 2, v[8:9]
	v_add_co_u32_e32 v10, vcc, v10, v6
	v_addc_co_u32_e32 v11, vcc, v5, v7, vcc
	s_mov_b64 s[18:19], -1
.LBB16_14:                              ;   in Loop: Header=BB16_3 Depth=1
	s_and_b64 vcc, exec, s[18:19]
	s_cbranch_vccz .LBB16_2
; %bb.15:                               ;   in Loop: Header=BB16_3 Depth=1
	global_store_dword v[10:11], v4, off
	s_branch .LBB16_2
.LBB16_16:
	s_endpgm
	.section	.rodata,"a",@progbits
	.p2align	6, 0x0
	.amdhsa_kernel _ZL18rocblas_trtri_fillILi128EfPKPfEvP15_rocblas_handle13rocblas_fill_ililT1_llii
		.amdhsa_group_segment_fixed_size 0
		.amdhsa_private_segment_fixed_size 0
		.amdhsa_kernarg_size 328
		.amdhsa_user_sgpr_count 6
		.amdhsa_user_sgpr_private_segment_buffer 1
		.amdhsa_user_sgpr_dispatch_ptr 0
		.amdhsa_user_sgpr_queue_ptr 0
		.amdhsa_user_sgpr_kernarg_segment_ptr 1
		.amdhsa_user_sgpr_dispatch_id 0
		.amdhsa_user_sgpr_flat_scratch_init 0
		.amdhsa_user_sgpr_kernarg_preload_length 0
		.amdhsa_user_sgpr_kernarg_preload_offset 0
		.amdhsa_user_sgpr_private_segment_size 0
		.amdhsa_uses_dynamic_stack 0
		.amdhsa_system_sgpr_private_segment_wavefront_offset 0
		.amdhsa_system_sgpr_workgroup_id_x 1
		.amdhsa_system_sgpr_workgroup_id_y 0
		.amdhsa_system_sgpr_workgroup_id_z 1
		.amdhsa_system_sgpr_workgroup_info 0
		.amdhsa_system_vgpr_workitem_id 0
		.amdhsa_next_free_vgpr 26
		.amdhsa_next_free_sgpr 28
		.amdhsa_accum_offset 28
		.amdhsa_reserve_vcc 1
		.amdhsa_reserve_flat_scratch 0
		.amdhsa_float_round_mode_32 0
		.amdhsa_float_round_mode_16_64 0
		.amdhsa_float_denorm_mode_32 3
		.amdhsa_float_denorm_mode_16_64 3
		.amdhsa_dx10_clamp 1
		.amdhsa_ieee_mode 1
		.amdhsa_fp16_overflow 0
		.amdhsa_tg_split 0
		.amdhsa_exception_fp_ieee_invalid_op 0
		.amdhsa_exception_fp_denorm_src 0
		.amdhsa_exception_fp_ieee_div_zero 0
		.amdhsa_exception_fp_ieee_overflow 0
		.amdhsa_exception_fp_ieee_underflow 0
		.amdhsa_exception_fp_ieee_inexact 0
		.amdhsa_exception_int_div_zero 0
	.end_amdhsa_kernel
	.section	.text._ZL18rocblas_trtri_fillILi128EfPKPfEvP15_rocblas_handle13rocblas_fill_ililT1_llii,"axG",@progbits,_ZL18rocblas_trtri_fillILi128EfPKPfEvP15_rocblas_handle13rocblas_fill_ililT1_llii,comdat
.Lfunc_end16:
	.size	_ZL18rocblas_trtri_fillILi128EfPKPfEvP15_rocblas_handle13rocblas_fill_ililT1_llii, .Lfunc_end16-_ZL18rocblas_trtri_fillILi128EfPKPfEvP15_rocblas_handle13rocblas_fill_ililT1_llii
                                        ; -- End function
	.section	.AMDGPU.csdata,"",@progbits
; Kernel info:
; codeLenInByte = 1964
; NumSgprs: 32
; NumVgprs: 26
; NumAgprs: 0
; TotalNumVgprs: 26
; ScratchSize: 0
; MemoryBound: 0
; FloatMode: 240
; IeeeMode: 1
; LDSByteSize: 0 bytes/workgroup (compile time only)
; SGPRBlocks: 3
; VGPRBlocks: 3
; NumSGPRsForWavesPerEU: 32
; NumVGPRsForWavesPerEU: 26
; AccumOffset: 28
; Occupancy: 8
; WaveLimiterHint : 0
; COMPUTE_PGM_RSRC2:SCRATCH_EN: 0
; COMPUTE_PGM_RSRC2:USER_SGPR: 6
; COMPUTE_PGM_RSRC2:TRAP_HANDLER: 0
; COMPUTE_PGM_RSRC2:TGID_X_EN: 1
; COMPUTE_PGM_RSRC2:TGID_Y_EN: 0
; COMPUTE_PGM_RSRC2:TGID_Z_EN: 1
; COMPUTE_PGM_RSRC2:TIDIG_COMP_CNT: 0
; COMPUTE_PGM_RSRC3_GFX90A:ACCUM_OFFSET: 6
; COMPUTE_PGM_RSRC3_GFX90A:TG_SPLIT: 0
	.section	.text._ZL26rocblas_trtri_small_kernelILi16EfPKPKfPKPfEv13rocblas_fill_17rocblas_diagonal_iT1_lillT2_lilli,"axG",@progbits,_ZL26rocblas_trtri_small_kernelILi16EfPKPKfPKPfEv13rocblas_fill_17rocblas_diagonal_iT1_lillT2_lilli,comdat
	.globl	_ZL26rocblas_trtri_small_kernelILi16EfPKPKfPKPfEv13rocblas_fill_17rocblas_diagonal_iT1_lillT2_lilli ; -- Begin function _ZL26rocblas_trtri_small_kernelILi16EfPKPKfPKPfEv13rocblas_fill_17rocblas_diagonal_iT1_lillT2_lilli
	.p2align	8
	.type	_ZL26rocblas_trtri_small_kernelILi16EfPKPKfPKPfEv13rocblas_fill_17rocblas_diagonal_iT1_lillT2_lilli,@function
_ZL26rocblas_trtri_small_kernelILi16EfPKPKfPKPfEv13rocblas_fill_17rocblas_diagonal_iT1_lillT2_lilli: ; @_ZL26rocblas_trtri_small_kernelILi16EfPKPKfPKPfEv13rocblas_fill_17rocblas_diagonal_iT1_lillT2_lilli
; %bb.0:
	s_load_dwordx4 s[12:15], s[4:5], 0x0
	s_waitcnt lgkmcnt(0)
	s_cmp_lt_i32 s14, 1
	s_cbranch_scc1 .LBB17_65
; %bb.1:
	s_load_dwordx4 s[8:11], s[4:5], 0x30
	s_load_dwordx2 s[16:17], s[4:5], 0x40
	s_mov_b32 s0, s7
	s_mov_b32 s1, 0
	s_lshl_b64 s[22:23], s[0:1], 3
	s_waitcnt lgkmcnt(0)
	s_add_u32 s0, s10, s22
	s_addc_u32 s1, s11, s23
	s_load_dwordx2 s[10:11], s[0:1], 0x0
	v_cmp_le_u32_e64 s[2:3], s14, v0
	v_cmp_gt_u32_e64 s[0:1], s14, v0
	s_mov_b64 s[20:21], -1
	s_and_saveexec_b64 s[18:19], s[0:1]
	s_cbranch_execz .LBB17_24
; %bb.2:
	s_load_dwordx4 s[24:27], s[4:5], 0x10
	s_load_dword s20, s[4:5], 0x20
	s_mul_i32 s7, s6, s9
	s_mul_hi_u32 s9, s6, s8
	s_mul_i32 s8, s6, s8
	s_waitcnt lgkmcnt(0)
	s_add_u32 s22, s24, s22
	s_addc_u32 s23, s25, s23
	s_load_dwordx2 s[22:23], s[22:23], 0x0
	s_lshl_b64 s[24:25], s[26:27], 2
	s_waitcnt lgkmcnt(0)
	s_add_u32 s15, s22, s24
	s_addc_u32 s21, s23, s25
	s_add_i32 s9, s9, s7
	s_lshl_b64 s[26:27], s[8:9], 2
	s_add_u32 s7, s15, s26
	s_addc_u32 s15, s21, s27
	s_cmpk_lg_i32 s12, 0x7a
	s_cbranch_scc0 .LBB17_11
; %bb.3:
	s_add_i32 s8, s14, -1
	s_ashr_i32 s21, s20, 31
	v_min_i32_e32 v1, s8, v0
	v_sub_u32_e32 v1, s14, v1
	s_cmp_lg_u32 s14, 1
	v_cmp_gt_u32_e32 vcc, 2, v1
	s_cselect_b64 s[8:9], -1, 0
	s_or_b64 s[8:9], vcc, s[8:9]
	s_mov_b64 s[28:29], 0
	s_and_saveexec_b64 s[30:31], s[8:9]
	s_xor_b64 s[8:9], exec, s[30:31]
	s_cbranch_execz .LBB17_7
; %bb.4:
	s_lshl_b32 s30, s14, 2
	s_ashr_i32 s28, s14, 31
	s_add_u32 s31, s14, -1
	s_addc_u32 s28, s28, -1
	s_mul_i32 s29, s31, s21
	s_mul_hi_u32 s33, s31, s20
	s_add_i32 s29, s33, s29
	s_mul_i32 s28, s28, s20
	s_add_i32 s29, s29, s28
	s_mul_i32 s28, s31, s20
	s_lshl_b64 s[28:29], s[28:29], 2
	s_add_u32 s28, s28, s26
	s_addc_u32 s29, s29, s27
	s_add_u32 s28, s28, s24
	s_addc_u32 s29, s29, s25
	;; [unrolled: 2-line block ×3, first 2 shown]
	s_lshl_b64 s[34:35], s[20:21], 2
	v_lshlrev_b32_e32 v2, 2, v0
	s_sub_u32 s31, 0, s34
	v_sub_u32_e32 v1, s30, v2
	v_mov_b32_e32 v3, s29
	v_add_co_u32_e32 v2, vcc, s28, v2
	s_subb_u32 s33, 0, s35
	v_add_u32_e32 v1, -4, v1
	v_addc_co_u32_e32 v3, vcc, 0, v3, vcc
	s_mov_b64 s[28:29], 0
	v_mov_b32_e32 v4, s33
	s_mov_b32 s33, s14
.LBB17_5:                               ; =>This Inner Loop Header: Depth=1
	global_load_dword v5, v[2:3], off
	v_add_co_u32_e32 v2, vcc, s31, v2
	s_add_i32 s33, s33, -1
	v_addc_co_u32_e32 v3, vcc, v3, v4, vcc
	v_cmp_le_i32_e32 vcc, s33, v0
	s_or_b64 s[28:29], vcc, s[28:29]
	s_waitcnt vmcnt(0)
	ds_write_b32 v1, v5
	v_add_u32_e32 v1, s30, v1
	s_andn2_b64 exec, exec, s[28:29]
	s_cbranch_execnz .LBB17_5
; %bb.6:
	s_or_b64 exec, exec, s[28:29]
	s_mov_b64 s[28:29], exec
.LBB17_7:
	s_andn2_saveexec_b64 s[30:31], s[8:9]
	s_cbranch_execz .LBB17_10
; %bb.8:
	v_lshlrev_b32_e32 v3, 2, v0
	v_mov_b32_e32 v2, s15
	v_add_co_u32_e32 v1, vcc, s7, v3
	v_addc_co_u32_e32 v2, vcc, 0, v2, vcc
	s_mov_b32 s33, s20
	s_mov_b32 s34, s21
	;; [unrolled: 1-line block ×3, first 2 shown]
	v_sub_u32_e32 v3, 0, v3
	s_mov_b32 s36, -1
.LBB17_9:                               ; =>This Inner Loop Header: Depth=1
	s_ashr_i32 s9, s35, 31
	s_ashr_i32 s37, s36, 31
	s_mul_hi_u32 s39, s33, s36
	s_mul_hi_u32 s41, s20, s35
	s_mul_i32 s37, s33, s37
	s_mul_i32 s9, s20, s9
	s_mul_i32 s40, s34, s36
	s_mul_i32 s42, s21, s35
	s_add_i32 s37, s39, s37
	s_add_i32 s39, s41, s9
	s_mul_i32 s8, s33, s36
	s_mul_i32 s38, s20, s35
	s_add_i32 s9, s37, s40
	s_add_i32 s39, s39, s42
	s_lshl_b64 s[38:39], s[38:39], 2
	s_lshl_b64 s[8:9], s[8:9], 2
	v_mov_b32_e32 v5, s39
	v_mov_b32_e32 v8, s9
	v_add_co_u32_e32 v4, vcc, s8, v1
	v_add_co_u32_e64 v6, s[8:9], s38, v1
	v_addc_co_u32_e64 v7, s[8:9], v2, v5, s[8:9]
	v_addc_co_u32_e32 v5, vcc, v2, v8, vcc
	global_load_dword v8, v[6:7], off
	global_load_dword v9, v[4:5], off
	s_add_i32 s35, s35, -2
	s_add_i32 s36, s36, -2
	s_waitcnt vmcnt(0)
	ds_write2_b32 v3, v8, v9 offset1:1
	v_add_u32_e32 v3, 8, v3
	s_branch .LBB17_9
.LBB17_10:
	s_or_b64 exec, exec, s[30:31]
	s_branch .LBB17_23
.LBB17_11:
	s_mov_b64 s[28:29], 0
	s_cbranch_execz .LBB17_23
; %bb.12:
	v_mov_b32_e32 v4, 0
	v_add_u32_e32 v1, 1, v0
	v_cmp_gt_u32_e64 s[8:9], 3, v0
	v_cmp_lt_u32_e32 vcc, 2, v0
	s_and_saveexec_b64 s[28:29], vcc
	s_cbranch_execz .LBB17_19
; %bb.13:
	s_cmp_eq_u32 s20, 1
	s_cselect_b64 s[30:31], -1, 0
	s_cmp_eq_u32 s14, 1
	s_cselect_b64 s[34:35], -1, 0
	s_and_b64 s[30:31], s[30:31], s[34:35]
	s_and_b64 vcc, exec, s[30:31]
	s_cbranch_vccz .LBB17_17
; %bb.14:
	v_lshlrev_b32_e32 v5, 2, v0
	v_mov_b32_e32 v3, s15
	v_add_co_u32_e32 v2, vcc, s7, v5
	v_and_b32_e32 v4, 30, v1
	v_addc_co_u32_e32 v3, vcc, 0, v3, vcc
	s_mov_b64 s[30:31], 0
	v_mov_b32_e32 v6, v4
.LBB17_15:                              ; =>This Inner Loop Header: Depth=1
	global_load_dwordx2 v[8:9], v[2:3], off
	v_add_co_u32_e32 v2, vcc, 8, v2
	v_addc_co_u32_e32 v3, vcc, 0, v3, vcc
	v_add_u32_e32 v6, -2, v6
	v_cmp_eq_u32_e32 vcc, 0, v6
	s_or_b64 s[30:31], vcc, s[30:31]
	s_waitcnt vmcnt(0)
	ds_write2_b32 v5, v8, v9 offset1:1
	v_add_u32_e32 v5, 8, v5
	s_andn2_b64 exec, exec, s[30:31]
	s_cbranch_execnz .LBB17_15
; %bb.16:
	s_or_b64 exec, exec, s[30:31]
	v_cmp_ne_u32_e64 s[30:31], v1, v4
	s_branch .LBB17_18
.LBB17_17:
	s_mov_b64 s[30:31], -1
	v_mov_b32_e32 v4, 0
.LBB17_18:
	s_andn2_b64 s[8:9], s[8:9], exec
	s_and_b64 s[30:31], s[30:31], exec
	s_or_b64 s[8:9], s[8:9], s[30:31]
.LBB17_19:
	s_or_b64 exec, exec, s[28:29]
	s_and_saveexec_b64 s[28:29], s[8:9]
	s_cbranch_execz .LBB17_22
; %bb.20:
	v_mul_lo_u32 v2, v4, s14
	s_ashr_i32 s21, s20, 31
	v_add_lshl_u32 v5, v0, v2, 2
	s_lshl_b32 s7, s14, 2
	v_mad_i64_i32 v[2:3], s[8:9], s20, v4, 0
	s_add_u32 s8, s24, s26
	v_lshlrev_b64 v[2:3], 2, v[2:3]
	s_addc_u32 s9, s25, s27
	v_sub_u32_e32 v1, v1, v4
	v_mov_b32_e32 v4, s9
	v_add_co_u32_e32 v2, vcc, s8, v2
	v_addc_co_u32_e32 v3, vcc, v4, v3, vcc
	v_lshlrev_b32_e32 v4, 2, v0
	v_add_co_u32_e32 v2, vcc, v2, v4
	v_addc_co_u32_e32 v3, vcc, 0, v3, vcc
	v_mov_b32_e32 v4, s23
	v_add_co_u32_e32 v2, vcc, s22, v2
	s_lshl_b64 s[8:9], s[20:21], 2
	v_addc_co_u32_e32 v3, vcc, v4, v3, vcc
	s_mov_b64 s[20:21], 0
	v_mov_b32_e32 v4, s9
.LBB17_21:                              ; =>This Inner Loop Header: Depth=1
	global_load_dword v6, v[2:3], off
	v_add_co_u32_e32 v2, vcc, s8, v2
	v_add_u32_e32 v1, -1, v1
	v_addc_co_u32_e32 v3, vcc, v3, v4, vcc
	v_cmp_eq_u32_e32 vcc, 0, v1
	s_or_b64 s[20:21], vcc, s[20:21]
	s_waitcnt vmcnt(0)
	ds_write_b32 v5, v6
	v_add_u32_e32 v5, s7, v5
	s_andn2_b64 exec, exec, s[20:21]
	s_cbranch_execnz .LBB17_21
.LBB17_22:
	s_or_b64 exec, exec, s[28:29]
	s_mov_b64 s[28:29], -1
.LBB17_23:
	s_orn2_b64 s[20:21], s[28:29], exec
.LBB17_24:
	s_or_b64 exec, exec, s[18:19]
	s_and_saveexec_b64 s[8:9], s[20:21]
	s_cbranch_execz .LBB17_65
; %bb.25:
	s_waitcnt lgkmcnt(0)
	; wave barrier
	s_waitcnt lgkmcnt(0)
                                        ; implicit-def: $vgpr2
	s_and_saveexec_b64 s[8:9], s[2:3]
	s_xor_b64 s[2:3], exec, s[8:9]
; %bb.26:
	v_mad_u64_u32 v[2:3], s[8:9], v0, s14, v[0:1]
; %bb.27:
	s_andn2_saveexec_b64 s[2:3], s[2:3]
	s_cbranch_execz .LBB17_33
; %bb.28:
	v_mad_u64_u32 v[2:3], s[8:9], v0, s14, v[0:1]
	s_cmpk_eq_i32 s13, 0x84
	v_lshlrev_b32_e32 v1, 2, v2
	v_mov_b32_e32 v4, 1.0
	s_cbranch_scc1 .LBB17_32
; %bb.29:
	ds_read_b32 v3, v1
	v_mov_b32_e32 v4, 1.0
	s_waitcnt lgkmcnt(0)
	v_cmp_neq_f32_e32 vcc, 0, v3
	s_and_saveexec_b64 s[8:9], vcc
; %bb.30:
	v_div_scale_f32 v4, s[18:19], v3, v3, 1.0
	v_rcp_f32_e32 v5, v4
	v_div_scale_f32 v6, vcc, 1.0, v3, 1.0
	v_fma_f32 v7, -v4, v5, 1.0
	v_fmac_f32_e32 v5, v7, v5
	v_mul_f32_e32 v7, v6, v5
	v_fma_f32 v8, -v4, v7, v6
	v_fmac_f32_e32 v7, v8, v5
	v_fma_f32 v4, -v4, v7, v6
	v_div_fmas_f32 v4, v4, v5, v7
	v_div_fixup_f32 v4, v4, v3, 1.0
; %bb.31:
	s_or_b64 exec, exec, s[8:9]
.LBB17_32:
	ds_write_b32 v1, v4
.LBB17_33:
	s_or_b64 exec, exec, s[2:3]
	s_lshl_b32 s15, s14, 2
	v_lshlrev_b32_e32 v1, 2, v2
	s_mov_b32 s7, 4
	s_add_i32 s8, s15, 4
	v_add_lshl_u32 v2, v0, s14, 2
	s_mov_b32 s9, 0
	s_waitcnt lgkmcnt(0)
	; wave barrier
	s_waitcnt lgkmcnt(0)
	s_branch .LBB17_35
.LBB17_34:                              ;   in Loop: Header=BB17_35 Depth=1
	s_add_i32 s7, s7, s8
	s_cmp_eq_u32 s9, s14
	v_add_u32_e32 v2, s15, v2
	s_waitcnt lgkmcnt(0)
	; wave barrier
	s_cbranch_scc1 .LBB17_44
.LBB17_35:                              ; =>This Loop Header: Depth=1
                                        ;     Child Loop BB17_40 Depth 2
	s_mul_i32 s13, s9, s14
	v_cmp_lt_u32_e32 vcc, s9, v0
	v_add_lshl_u32 v3, s13, v0, 2
	v_mov_b32_e32 v4, 0
	s_and_saveexec_b64 s[2:3], vcc
	s_cbranch_execz .LBB17_37
; %bb.36:                               ;   in Loop: Header=BB17_35 Depth=1
	s_add_i32 s13, s13, s9
	s_lshl_b32 s13, s13, 2
	v_mov_b32_e32 v4, s13
	ds_read_b32 v5, v3
	ds_read_b32 v4, v4
	s_waitcnt lgkmcnt(0)
	v_fma_f32 v4, v5, v4, 0
.LBB17_37:                              ;   in Loop: Header=BB17_35 Depth=1
	s_or_b64 exec, exec, s[2:3]
	s_add_i32 s9, s9, 1
	s_cmp_ge_i32 s9, s14
	s_waitcnt lgkmcnt(0)
	; wave barrier
	s_cbranch_scc1 .LBB17_34
; %bb.38:                               ;   in Loop: Header=BB17_35 Depth=1
	v_mov_b32_e32 v5, v2
	s_mov_b32 s13, s7
	s_mov_b32 s18, s9
	s_branch .LBB17_40
.LBB17_39:                              ;   in Loop: Header=BB17_40 Depth=2
	s_or_b64 exec, exec, s[2:3]
	s_add_i32 s18, s18, 1
	s_add_i32 s13, s13, 4
	s_cmp_ge_i32 s18, s14
	v_add_u32_e32 v5, s15, v5
	s_waitcnt lgkmcnt(0)
	; wave barrier
	s_cbranch_scc1 .LBB17_34
.LBB17_40:                              ;   Parent Loop BB17_35 Depth=1
                                        ; =>  This Inner Loop Header: Depth=2
	v_cmp_eq_u32_e32 vcc, s18, v0
	s_and_saveexec_b64 s[2:3], vcc
	s_cbranch_execz .LBB17_42
; %bb.41:                               ;   in Loop: Header=BB17_40 Depth=2
	ds_read_b32 v6, v1
	s_waitcnt lgkmcnt(0)
	v_mul_f32_e64 v6, -v4, v6
	ds_write_b32 v3, v6
.LBB17_42:                              ;   in Loop: Header=BB17_40 Depth=2
	s_or_b64 exec, exec, s[2:3]
	v_cmp_lt_u32_e32 vcc, s18, v0
	s_waitcnt lgkmcnt(0)
	; wave barrier
	s_waitcnt lgkmcnt(0)
	s_and_saveexec_b64 s[2:3], vcc
	s_cbranch_execz .LBB17_39
; %bb.43:                               ;   in Loop: Header=BB17_40 Depth=2
	v_mov_b32_e32 v7, s13
	ds_read_b32 v6, v5
	ds_read_b32 v7, v7
	s_waitcnt lgkmcnt(0)
	v_fmac_f32_e32 v4, v6, v7
	s_branch .LBB17_39
.LBB17_44:
	s_and_b64 exec, exec, s[0:1]
	s_cbranch_execz .LBB17_65
; %bb.45:
	s_load_dwordx2 s[0:1], s[4:5], 0x58
	s_load_dword s8, s[4:5], 0x48
	s_lshl_b64 s[4:5], s[16:17], 2
	s_add_u32 s2, s10, s4
	s_addc_u32 s3, s11, s5
	s_waitcnt lgkmcnt(0)
	s_mul_i32 s1, s6, s1
	s_mul_hi_u32 s7, s6, s0
	s_add_i32 s1, s7, s1
	s_mul_i32 s0, s6, s0
	s_lshl_b64 s[6:7], s[0:1], 2
	s_add_u32 s16, s2, s6
	s_addc_u32 s17, s3, s7
	s_cmpk_lg_i32 s12, 0x7a
	s_mov_b64 s[0:1], -1
	s_cbranch_scc0 .LBB17_54
; %bb.46:
	s_add_i32 s2, s14, -1
	s_ashr_i32 s9, s8, 31
	v_min_i32_e32 v1, s2, v0
	v_sub_u32_e32 v1, s14, v1
	s_cmp_lg_u32 s14, 1
	v_cmp_gt_u32_e32 vcc, 2, v1
	s_cselect_b64 s[0:1], -1, 0
	s_or_b64 s[0:1], vcc, s[0:1]
	s_and_saveexec_b64 s[12:13], s[0:1]
	s_xor_b64 s[0:1], exec, s[12:13]
	s_cbranch_execz .LBB17_50
; %bb.47:
	s_mul_i32 s3, s9, s2
	s_mul_hi_u32 s12, s8, s2
	s_add_i32 s3, s12, s3
	s_mul_i32 s2, s8, s2
	s_lshl_b64 s[2:3], s[2:3], 2
	s_add_u32 s2, s6, s2
	s_addc_u32 s3, s7, s3
	s_add_u32 s2, s2, s4
	s_addc_u32 s3, s3, s5
	;; [unrolled: 2-line block ×3, first 2 shown]
	s_lshl_b64 s[12:13], s[8:9], 2
	v_lshlrev_b32_e32 v1, 2, v0
	s_sub_u32 s12, 0, s12
	v_mov_b32_e32 v3, s3
	v_add_co_u32_e32 v2, vcc, s2, v1
	s_subb_u32 s13, 0, s13
	v_sub_u32_e32 v1, s15, v1
	v_addc_co_u32_e32 v3, vcc, 0, v3, vcc
	s_mov_b64 s[2:3], 0
	v_add_u32_e32 v1, -4, v1
	v_mov_b32_e32 v4, s13
	s_mov_b32 s13, s14
.LBB17_48:                              ; =>This Inner Loop Header: Depth=1
	ds_read_b32 v5, v1
	s_add_i32 s13, s13, -1
	v_cmp_le_i32_e32 vcc, s13, v0
	s_or_b64 s[2:3], vcc, s[2:3]
	v_add_u32_e32 v1, s15, v1
	s_waitcnt lgkmcnt(0)
	global_store_dword v[2:3], v5, off
	v_add_co_u32_e32 v2, vcc, s12, v2
	v_addc_co_u32_e32 v3, vcc, v3, v4, vcc
	s_andn2_b64 exec, exec, s[2:3]
	s_cbranch_execnz .LBB17_48
; %bb.49:
	s_or_b64 exec, exec, s[2:3]
.LBB17_50:
	s_andn2_saveexec_b64 s[12:13], s[0:1]
	s_cbranch_execz .LBB17_53
; %bb.51:
	v_lshlrev_b32_e32 v3, 2, v0
	v_mov_b32_e32 v2, s17
	v_add_co_u32_e32 v1, vcc, s16, v3
	v_addc_co_u32_e32 v2, vcc, 0, v2, vcc
	s_mov_b32 s18, s8
	s_mov_b32 s19, s9
	;; [unrolled: 1-line block ×3, first 2 shown]
	v_sub_u32_e32 v3, 0, v3
	s_mov_b32 s21, -1
	s_and_b64 vcc, exec, 0
.LBB17_52:                              ; =>This Inner Loop Header: Depth=1
	ds_read2_b32 v[4:5], v3 offset1:1
	s_mul_i32 s1, s19, s21
	s_mul_hi_u32 s3, s18, s21
	s_mul_i32 s22, s9, s20
	s_mul_hi_u32 s23, s8, s20
	s_mul_i32 s2, s8, s20
	s_add_i32 s1, s3, s1
	s_add_i32 s3, s23, s22
	s_mul_i32 s0, s18, s21
	s_lshl_b64 s[2:3], s[2:3], 2
	s_lshl_b64 s[0:1], s[0:1], 2
	v_mov_b32_e32 v7, s3
	v_add_co_u32_e64 v8, s[2:3], s2, v1
	s_add_i32 s20, s20, -2
	s_add_i32 s21, s21, -2
	v_add_u32_e32 v3, 8, v3
	v_mov_b32_e32 v10, s1
	v_add_co_u32_e64 v6, s[0:1], s0, v1
	v_addc_co_u32_e64 v9, s[2:3], v2, v7, s[2:3]
	v_addc_co_u32_e64 v7, s[0:1], v2, v10, s[0:1]
	s_waitcnt lgkmcnt(0)
	global_store_dword v[8:9], v4, off
	global_store_dword v[6:7], v5, off
	s_mov_b64 vcc, vcc
	s_cbranch_vccz .LBB17_52
.LBB17_53:
	s_or_b64 exec, exec, s[12:13]
	s_mov_b64 s[0:1], 0
.LBB17_54:
	s_andn2_b64 vcc, exec, s[0:1]
	s_cbranch_vccnz .LBB17_65
; %bb.55:
	v_mov_b32_e32 v1, 0
	v_add_u32_e32 v4, 1, v0
	v_cmp_gt_u32_e64 s[0:1], 3, v0
	v_cmp_lt_u32_e32 vcc, 2, v0
	s_and_saveexec_b64 s[2:3], vcc
	s_cbranch_execz .LBB17_62
; %bb.56:
	s_cmp_eq_u32 s14, 1
	s_cselect_b64 s[12:13], -1, 0
	s_cmp_eq_u32 s8, 1
	s_cselect_b64 s[18:19], -1, 0
	s_and_b64 s[12:13], s[12:13], s[18:19]
	s_and_b64 vcc, exec, s[12:13]
	s_cbranch_vccz .LBB17_60
; %bb.57:
	v_lshlrev_b32_e32 v5, 2, v0
	v_mov_b32_e32 v1, s17
	v_add_co_u32_e32 v2, vcc, s16, v5
	v_addc_co_u32_e32 v3, vcc, 0, v1, vcc
	v_and_b32_e32 v1, 30, v4
	s_mov_b64 s[12:13], 0
	v_mov_b32_e32 v6, v1
.LBB17_58:                              ; =>This Inner Loop Header: Depth=1
	ds_read2_b32 v[8:9], v5 offset1:1
	v_add_u32_e32 v6, -2, v6
	v_cmp_eq_u32_e32 vcc, 0, v6
	s_or_b64 s[12:13], vcc, s[12:13]
	v_add_u32_e32 v5, 8, v5
	s_waitcnt lgkmcnt(0)
	global_store_dwordx2 v[2:3], v[8:9], off
	v_add_co_u32_e32 v2, vcc, 8, v2
	v_addc_co_u32_e32 v3, vcc, 0, v3, vcc
	s_andn2_b64 exec, exec, s[12:13]
	s_cbranch_execnz .LBB17_58
; %bb.59:
	s_or_b64 exec, exec, s[12:13]
	v_cmp_ne_u32_e64 s[12:13], v4, v1
	s_branch .LBB17_61
.LBB17_60:
	s_mov_b64 s[12:13], -1
	v_mov_b32_e32 v1, 0
.LBB17_61:
	s_andn2_b64 s[0:1], s[0:1], exec
	s_and_b64 s[12:13], s[12:13], exec
	s_or_b64 s[0:1], s[0:1], s[12:13]
.LBB17_62:
	s_or_b64 exec, exec, s[2:3]
	s_and_b64 exec, exec, s[0:1]
	s_cbranch_execz .LBB17_65
; %bb.63:
	s_ashr_i32 s9, s8, 31
	v_mad_i64_i32 v[2:3], s[0:1], s8, v1, 0
	s_add_u32 s0, s4, s6
	v_lshlrev_b64 v[2:3], 2, v[2:3]
	s_addc_u32 s1, s5, s7
	v_mov_b32_e32 v5, s1
	v_add_co_u32_e32 v2, vcc, s0, v2
	v_addc_co_u32_e32 v3, vcc, v5, v3, vcc
	v_lshlrev_b32_e32 v5, 2, v0
	v_add_co_u32_e32 v2, vcc, v2, v5
	v_addc_co_u32_e32 v3, vcc, 0, v3, vcc
	v_sub_u32_e32 v4, v4, v1
	v_mov_b32_e32 v5, s11
	v_add_co_u32_e32 v2, vcc, s10, v2
	s_lshl_b64 s[0:1], s[8:9], 2
	v_mul_lo_u32 v1, v1, s14
	v_addc_co_u32_e32 v3, vcc, v5, v3, vcc
	v_add_lshl_u32 v0, v0, v1, 2
	s_mov_b64 s[2:3], 0
	v_mov_b32_e32 v1, s1
.LBB17_64:                              ; =>This Inner Loop Header: Depth=1
	ds_read_b32 v5, v0
	v_add_u32_e32 v4, -1, v4
	v_cmp_eq_u32_e32 vcc, 0, v4
	s_or_b64 s[2:3], vcc, s[2:3]
	v_add_u32_e32 v0, s15, v0
	s_waitcnt lgkmcnt(0)
	global_store_dword v[2:3], v5, off
	v_add_co_u32_e32 v2, vcc, s0, v2
	v_addc_co_u32_e32 v3, vcc, v3, v1, vcc
	s_andn2_b64 exec, exec, s[2:3]
	s_cbranch_execnz .LBB17_64
.LBB17_65:
	s_endpgm
	.section	.rodata,"a",@progbits
	.p2align	6, 0x0
	.amdhsa_kernel _ZL26rocblas_trtri_small_kernelILi16EfPKPKfPKPfEv13rocblas_fill_17rocblas_diagonal_iT1_lillT2_lilli
		.amdhsa_group_segment_fixed_size 1024
		.amdhsa_private_segment_fixed_size 0
		.amdhsa_kernarg_size 100
		.amdhsa_user_sgpr_count 6
		.amdhsa_user_sgpr_private_segment_buffer 1
		.amdhsa_user_sgpr_dispatch_ptr 0
		.amdhsa_user_sgpr_queue_ptr 0
		.amdhsa_user_sgpr_kernarg_segment_ptr 1
		.amdhsa_user_sgpr_dispatch_id 0
		.amdhsa_user_sgpr_flat_scratch_init 0
		.amdhsa_user_sgpr_kernarg_preload_length 0
		.amdhsa_user_sgpr_kernarg_preload_offset 0
		.amdhsa_user_sgpr_private_segment_size 0
		.amdhsa_uses_dynamic_stack 0
		.amdhsa_system_sgpr_private_segment_wavefront_offset 0
		.amdhsa_system_sgpr_workgroup_id_x 1
		.amdhsa_system_sgpr_workgroup_id_y 0
		.amdhsa_system_sgpr_workgroup_id_z 1
		.amdhsa_system_sgpr_workgroup_info 0
		.amdhsa_system_vgpr_workitem_id 0
		.amdhsa_next_free_vgpr 11
		.amdhsa_next_free_sgpr 43
		.amdhsa_accum_offset 12
		.amdhsa_reserve_vcc 1
		.amdhsa_reserve_flat_scratch 0
		.amdhsa_float_round_mode_32 0
		.amdhsa_float_round_mode_16_64 0
		.amdhsa_float_denorm_mode_32 3
		.amdhsa_float_denorm_mode_16_64 3
		.amdhsa_dx10_clamp 1
		.amdhsa_ieee_mode 1
		.amdhsa_fp16_overflow 0
		.amdhsa_tg_split 0
		.amdhsa_exception_fp_ieee_invalid_op 0
		.amdhsa_exception_fp_denorm_src 0
		.amdhsa_exception_fp_ieee_div_zero 0
		.amdhsa_exception_fp_ieee_overflow 0
		.amdhsa_exception_fp_ieee_underflow 0
		.amdhsa_exception_fp_ieee_inexact 0
		.amdhsa_exception_int_div_zero 0
	.end_amdhsa_kernel
	.section	.text._ZL26rocblas_trtri_small_kernelILi16EfPKPKfPKPfEv13rocblas_fill_17rocblas_diagonal_iT1_lillT2_lilli,"axG",@progbits,_ZL26rocblas_trtri_small_kernelILi16EfPKPKfPKPfEv13rocblas_fill_17rocblas_diagonal_iT1_lillT2_lilli,comdat
.Lfunc_end17:
	.size	_ZL26rocblas_trtri_small_kernelILi16EfPKPKfPKPfEv13rocblas_fill_17rocblas_diagonal_iT1_lillT2_lilli, .Lfunc_end17-_ZL26rocblas_trtri_small_kernelILi16EfPKPKfPKPfEv13rocblas_fill_17rocblas_diagonal_iT1_lillT2_lilli
                                        ; -- End function
	.section	.AMDGPU.csdata,"",@progbits
; Kernel info:
; codeLenInByte = 2224
; NumSgprs: 47
; NumVgprs: 11
; NumAgprs: 0
; TotalNumVgprs: 11
; ScratchSize: 0
; MemoryBound: 0
; FloatMode: 240
; IeeeMode: 1
; LDSByteSize: 1024 bytes/workgroup (compile time only)
; SGPRBlocks: 5
; VGPRBlocks: 1
; NumSGPRsForWavesPerEU: 47
; NumVGPRsForWavesPerEU: 11
; AccumOffset: 12
; Occupancy: 8
; WaveLimiterHint : 1
; COMPUTE_PGM_RSRC2:SCRATCH_EN: 0
; COMPUTE_PGM_RSRC2:USER_SGPR: 6
; COMPUTE_PGM_RSRC2:TRAP_HANDLER: 0
; COMPUTE_PGM_RSRC2:TGID_X_EN: 1
; COMPUTE_PGM_RSRC2:TGID_Y_EN: 0
; COMPUTE_PGM_RSRC2:TGID_Z_EN: 1
; COMPUTE_PGM_RSRC2:TIDIG_COMP_CNT: 0
; COMPUTE_PGM_RSRC3_GFX90A:ACCUM_OFFSET: 2
; COMPUTE_PGM_RSRC3_GFX90A:TG_SPLIT: 0
	.section	.text._ZL29rocblas_trtri_diagonal_kernelILi16EfPKPKfPKPfEv13rocblas_fill_17rocblas_diagonal_iT1_lillT2_lilli,"axG",@progbits,_ZL29rocblas_trtri_diagonal_kernelILi16EfPKPKfPKPfEv13rocblas_fill_17rocblas_diagonal_iT1_lillT2_lilli,comdat
	.globl	_ZL29rocblas_trtri_diagonal_kernelILi16EfPKPKfPKPfEv13rocblas_fill_17rocblas_diagonal_iT1_lillT2_lilli ; -- Begin function _ZL29rocblas_trtri_diagonal_kernelILi16EfPKPKfPKPfEv13rocblas_fill_17rocblas_diagonal_iT1_lillT2_lilli
	.p2align	8
	.type	_ZL29rocblas_trtri_diagonal_kernelILi16EfPKPKfPKPfEv13rocblas_fill_17rocblas_diagonal_iT1_lillT2_lilli,@function
_ZL29rocblas_trtri_diagonal_kernelILi16EfPKPKfPKPfEv13rocblas_fill_17rocblas_diagonal_iT1_lillT2_lilli: ; @_ZL29rocblas_trtri_diagonal_kernelILi16EfPKPKfPKPfEv13rocblas_fill_17rocblas_diagonal_iT1_lillT2_lilli
; %bb.0:
	s_load_dwordx4 s[8:11], s[4:5], 0x0
	s_mov_b32 s0, s7
	s_waitcnt lgkmcnt(0)
	s_ashr_i32 s1, s10, 31
	s_lshr_b32 s1, s1, 27
	s_add_i32 s1, s10, s1
	s_ashr_i32 s1, s1, 5
	v_cvt_f32_u32_e32 v1, s1
	s_sub_i32 s2, 0, s1
	v_rcp_iflag_f32_e32 v1, v1
	v_mul_f32_e32 v1, 0x4f7ffffe, v1
	v_cvt_u32_f32_e32 v1, v1
	v_readfirstlane_b32 s3, v1
	s_mul_i32 s2, s2, s3
	s_mul_hi_u32 s2, s3, s2
	s_add_i32 s3, s3, s2
	s_mul_hi_u32 s2, s6, s3
	s_mul_i32 s3, s2, s1
	s_sub_i32 s3, s6, s3
	s_add_i32 s7, s2, 1
	s_sub_i32 s11, s3, s1
	s_cmp_ge_u32 s3, s1
	s_cselect_b32 s2, s7, s2
	s_cselect_b32 s3, s11, s3
	s_add_i32 s7, s2, 1
	s_cmp_ge_u32 s3, s1
	s_cselect_b32 s38, s7, s2
	s_mul_i32 s1, s38, s1
	s_sub_i32 s39, s6, s1
	s_lshl_b32 s2, s39, 4
	s_cmp_eq_u32 s10, s2
	s_mov_b32 s1, 0
	s_cbranch_scc1 .LBB18_126
; %bb.1:
	s_load_dwordx4 s[12:15], s[4:5], 0x10
	s_load_dwordx4 s[16:19], s[4:5], 0x30
	s_load_dwordx2 s[20:21], s[4:5], 0x40
	s_lshl_b64 s[0:1], s[0:1], 3
	v_mov_b32_e32 v2, v0
	s_waitcnt lgkmcnt(0)
	s_add_u32 s6, s12, s0
	s_addc_u32 s7, s13, s1
	s_add_u32 s0, s18, s0
	s_addc_u32 s1, s19, s1
	s_load_dwordx2 s[22:23], s[6:7], 0x0
	s_load_dwordx2 s[12:13], s[0:1], 0x0
	s_sub_i32 s28, s10, s2
	s_min_u32 s33, s28, 16
	s_lshl_b32 s24, s33, 1
	v_cmp_gt_u32_e64 s[6:7], s33, v0
	v_cmp_le_u32_e64 s[0:1], s33, v0
	v_cmp_gt_u32_e64 s[2:3], s24, v0
	v_cmp_le_u32_e32 vcc, s24, v0
	s_and_saveexec_b64 s[10:11], s[0:1]
	s_cbranch_execz .LBB18_7
; %bb.2:
                                        ; implicit-def: $vgpr2
	s_and_saveexec_b64 s[18:19], vcc
	s_xor_b64 s[18:19], exec, s[18:19]
; %bb.3:
	v_subrev_u32_e32 v2, s24, v0
; %bb.4:
	s_andn2_saveexec_b64 s[18:19], s[18:19]
; %bb.5:
	v_subrev_u32_e32 v2, s33, v0
; %bb.6:
	s_or_b64 exec, exec, s[18:19]
.LBB18_7:
	s_or_b64 exec, exec, s[10:11]
	s_load_dword s10, s[4:5], 0x20
	v_mov_b32_e32 v1, 0xc00
	v_mov_b32_e32 v3, 0x800
	v_cndmask_b32_e64 v1, 0, v1, s[2:3]
	v_cndmask_b32_e64 v12, v1, v3, s[6:7]
	s_waitcnt lgkmcnt(0)
	s_ashr_i32 s11, s10, 31
	s_lshl_b64 s[6:7], s[10:11], 5
	s_add_u32 s6, s6, 32
	s_addc_u32 s7, s7, 0
	s_mul_i32 s7, s7, s39
	s_mul_hi_u32 s18, s6, s39
	s_add_i32 s19, s18, s7
	s_mul_i32 s18, s6, s39
	s_mul_i32 s6, s38, s17
	s_mul_hi_u32 s7, s38, s16
	s_add_i32 s17, s7, s6
	s_mul_i32 s16, s38, s16
	s_and_saveexec_b64 s[6:7], vcc
	s_xor_b64 s[24:25], exec, s[6:7]
	s_cbranch_execz .LBB18_30
; %bb.8:
	s_mul_i32 s6, s33, 3
	v_cmp_gt_u32_e32 vcc, s6, v0
	s_and_saveexec_b64 s[26:27], vcc
	s_cbranch_execz .LBB18_29
; %bb.9:
	s_cmpk_eq_i32 s8, 0x7a
	s_mov_b64 s[6:7], -1
	s_cbranch_scc1 .LBB18_18
; %bb.10:
	v_ashrrev_i32_e32 v3, 31, v2
	s_cmp_gt_u32 s33, 1
	v_lshlrev_b64 v[4:5], 2, v[2:3]
	s_mov_b32 s30, s33
	s_cbranch_scc0 .LBB18_14
; %bb.11:
	s_lshl_b64 s[6:7], s[14:15], 2
	s_add_u32 s29, s22, s6
	s_addc_u32 s30, s23, s7
	s_lshl_b64 s[6:7], s[18:19], 2
	s_add_u32 s29, s29, s6
	s_addc_u32 s30, s30, s7
	;; [unrolled: 3-line block ×3, first 2 shown]
	s_mul_hi_i32 s7, s33, s10
	s_mul_i32 s6, s33, s10
	s_lshl_b64 s[6:7], s[6:7], 2
	s_add_u32 s6, s29, s6
	s_addc_u32 s7, s30, s7
	v_mov_b32_e32 v3, s7
	v_add_co_u32_e32 v1, vcc, s6, v4
	s_and_b32 s29, s33, 30
	v_addc_co_u32_e32 v3, vcc, v3, v5, vcc
	v_lshl_add_u32 v6, v2, 2, v12
	s_mov_b32 s30, s33
	s_add_i32 s31, s33, -1
	s_mov_b32 s34, s33
	s_mov_b32 s35, s10
	;; [unrolled: 1-line block ×4, first 2 shown]
.LBB18_12:                              ; =>This Inner Loop Header: Depth=1
	s_add_i32 s42, s34, -1
	s_add_i32 s43, s31, -1
	s_mul_i32 s7, s36, s43
	s_mul_hi_u32 s41, s35, s43
	s_mul_i32 s44, s11, s42
	s_mul_hi_u32 s45, s10, s42
	s_mul_i32 s6, s35, s43
	s_mul_i32 s40, s10, s42
	s_add_i32 s7, s41, s7
	s_add_i32 s41, s45, s44
	s_lshl_b64 s[40:41], s[40:41], 2
	s_lshl_b64 s[6:7], s[6:7], 2
	v_mov_b32_e32 v7, s41
	v_mov_b32_e32 v9, s7
	v_add_co_u32_e32 v8, vcc, s6, v1
	v_add_co_u32_e64 v10, s[6:7], s40, v1
	v_addc_co_u32_e64 v11, s[6:7], v3, v7, s[6:7]
	v_addc_co_u32_e32 v9, vcc, v3, v9, vcc
	global_load_dword v7, v[10:11], off
	global_load_dword v13, v[8:9], off
	s_add_i32 s31, s31, -2
	s_add_i32 s34, s34, -2
	s_add_i32 s37, s37, -2
	s_mul_i32 s42, s42, s33
	s_mul_i32 s43, s43, s30
	v_lshl_add_u32 v8, s42, 2, v6
	s_cmp_lg_u32 s37, 0
	v_lshl_add_u32 v9, s43, 2, v6
	s_waitcnt vmcnt(1)
	ds_write_b32 v8, v7
	s_waitcnt vmcnt(0)
	ds_write_b32 v9, v13
	s_cbranch_scc1 .LBB18_12
; %bb.13:
	s_sub_i32 s30, s33, s29
	s_cmp_lg_u32 s33, s29
	s_cselect_b64 s[6:7], -1, 0
.LBB18_14:
	s_and_b64 vcc, exec, s[6:7]
	s_cbranch_vccz .LBB18_17
; %bb.15:
	s_add_i32 s6, s30, 1
	s_add_i32 s30, s30, -1
	s_mul_i32 s7, s33, s30
	s_lshl_b32 s7, s7, 2
	v_lshlrev_b32_e32 v1, 2, v2
	s_lshl_b32 s29, s33, 2
	v_add3_u32 v1, s7, v1, v12
	s_sub_i32 s7, 0, s29
	s_lshl_b64 s[34:35], s[16:17], 2
	s_lshl_b64 s[36:37], s[18:19], 2
	s_mov_b32 s31, 0
	s_add_u32 s34, s34, s36
	s_addc_u32 s35, s35, s37
	s_lshl_b64 s[30:31], s[30:31], 2
	s_add_u32 s29, s29, s30
	s_addc_u32 s30, 0, s31
	s_mul_i32 s31, s29, s11
	s_mul_hi_u32 s36, s29, s10
	s_add_i32 s31, s36, s31
	s_mul_i32 s30, s30, s10
	s_add_i32 s31, s31, s30
	s_mul_i32 s29, s29, s10
	s_add_u32 s29, s34, s29
	s_addc_u32 s34, s35, s31
	s_lshl_b64 s[30:31], s[14:15], 2
	s_add_u32 s29, s29, s30
	s_addc_u32 s30, s34, s31
	s_add_u32 s29, s22, s29
	s_addc_u32 s30, s23, s30
	v_mov_b32_e32 v3, s30
	s_lshl_b64 s[30:31], s[10:11], 2
	v_add_co_u32_e32 v4, vcc, s29, v4
	s_sub_u32 s29, 0, s30
	s_subb_u32 s30, 0, s31
	v_addc_co_u32_e32 v5, vcc, v3, v5, vcc
	v_mov_b32_e32 v3, s30
.LBB18_16:                              ; =>This Inner Loop Header: Depth=1
	global_load_dword v6, v[4:5], off
	s_add_i32 s6, s6, -1
	v_add_co_u32_e32 v4, vcc, s29, v4
	v_addc_co_u32_e32 v5, vcc, v5, v3, vcc
	s_cmp_gt_u32 s6, 1
	s_waitcnt vmcnt(0)
	ds_write_b32 v1, v6
	v_add_u32_e32 v1, s7, v1
	s_cbranch_scc1 .LBB18_16
.LBB18_17:
	s_mov_b64 s[6:7], 0
.LBB18_18:
	s_andn2_b64 vcc, exec, s[6:7]
	s_cbranch_vccnz .LBB18_29
; %bb.19:
	s_cmp_gt_u32 s28, 1
	s_cselect_b64 s[6:7], -1, 0
	s_cmp_eq_u32 s10, 1
	v_add_u32_e32 v6, s33, v2
	s_cselect_b64 s[28:29], -1, 0
	v_ashrrev_i32_e32 v7, 31, v6
	s_and_b64 s[6:7], s[6:7], s[28:29]
	s_and_b64 vcc, exec, s[6:7]
	v_lshlrev_b64 v[4:5], 2, v[6:7]
	s_cbranch_vccnz .LBB18_21
; %bb.20:
	s_lshl_b64 s[6:7], s[16:17], 2
	s_lshl_b64 s[28:29], s[18:19], 2
	;; [unrolled: 1-line block ×3, first 2 shown]
	v_lshlrev_b64 v[6:7], 2, v[6:7]
	s_mov_b64 s[36:37], 0
	s_mov_b64 s[34:35], -1
	s_mov_b32 s40, 0
	s_branch .LBB18_22
.LBB18_21:
	s_mov_b64 s[36:37], -1
	s_mov_b64 s[34:35], 0
                                        ; implicit-def: $sgpr40
                                        ; implicit-def: $sgpr6_sgpr7
                                        ; implicit-def: $sgpr28_sgpr29
                                        ; implicit-def: $sgpr30_sgpr31
                                        ; implicit-def: $vgpr6_vgpr7
.LBB18_22:
	s_andn2_b64 vcc, exec, s[36:37]
	s_mov_b32 s36, 1
	s_cbranch_vccnz .LBB18_26
; %bb.23:
	s_and_b32 s40, s33, 30
	s_lshl_b64 s[6:7], s[16:17], 2
	s_lshl_b64 s[28:29], s[18:19], 2
	s_add_u32 s35, s6, s28
	s_addc_u32 s37, s7, s29
	s_lshl_b64 s[30:31], s[14:15], 2
	s_add_u32 s35, s35, s30
	s_addc_u32 s37, s37, s31
	s_add_u32 s35, s22, s35
	s_addc_u32 s37, s23, s37
	v_mov_b32_e32 v3, s37
	v_add_co_u32_e32 v6, vcc, s35, v4
	v_lshl_add_u32 v1, v2, 2, v12
	s_mov_b32 s34, s33
	v_addc_co_u32_e32 v7, vcc, v3, v5, vcc
	s_mov_b32 s35, 0
	s_mov_b32 s37, s40
.LBB18_24:                              ; =>This Inner Loop Header: Depth=1
	global_load_dwordx2 v[8:9], v[6:7], off
	s_mul_i32 s41, s36, s34
	s_mul_i32 s42, s35, s33
	s_add_i32 s35, s35, 2
	s_add_i32 s36, s36, 2
	v_add_co_u32_e32 v6, vcc, 8, v6
	s_add_i32 s37, s37, -2
	v_addc_co_u32_e32 v7, vcc, 0, v7, vcc
	v_lshl_add_u32 v3, s42, 2, v1
	s_cmp_lg_u32 s37, 0
	v_lshl_add_u32 v10, s41, 2, v1
	s_waitcnt vmcnt(0)
	ds_write_b32 v3, v8
	ds_write_b32 v10, v9
	s_cbranch_scc1 .LBB18_24
; %bb.25:
	s_cmp_lg_u32 s33, s40
	s_cselect_b64 s[34:35], -1, 0
	v_pk_mov_b32 v[6:7], v[4:5], v[4:5] op_sel:[0,1]
.LBB18_26:
	s_and_b64 vcc, exec, s[34:35]
	s_cbranch_vccz .LBB18_29
; %bb.27:
	s_mul_i32 s35, s40, s33
	s_mul_i32 s36, s11, s40
	s_mul_hi_u32 s37, s10, s40
	s_lshl_b32 s35, s35, 2
	v_lshlrev_b32_e32 v1, 2, v2
	s_add_i32 s37, s37, s36
	s_mul_i32 s36, s10, s40
	s_sub_i32 s34, s33, s40
	v_add3_u32 v1, s35, v1, v12
	s_lshl_b32 s35, s33, 2
	s_lshl_b64 s[36:37], s[36:37], 2
	s_add_u32 s6, s6, s36
	s_addc_u32 s7, s7, s37
	s_add_u32 s6, s6, s28
	s_addc_u32 s7, s7, s29
	;; [unrolled: 2-line block ×4, first 2 shown]
	v_mov_b32_e32 v3, s7
	v_add_co_u32_e32 v4, vcc, s6, v6
	s_lshl_b64 s[6:7], s[10:11], 2
	v_addc_co_u32_e32 v5, vcc, v3, v7, vcc
	v_mov_b32_e32 v3, s7
.LBB18_28:                              ; =>This Inner Loop Header: Depth=1
	global_load_dword v6, v[4:5], off
	s_add_i32 s34, s34, -1
	v_add_co_u32_e32 v4, vcc, s6, v4
	v_addc_co_u32_e32 v5, vcc, v5, v3, vcc
	s_cmp_eq_u32 s34, 0
	s_waitcnt vmcnt(0)
	ds_write_b32 v1, v6
	v_add_u32_e32 v1, s35, v1
	s_cbranch_scc0 .LBB18_28
.LBB18_29:
	s_or_b64 exec, exec, s[26:27]
.LBB18_30:
	s_andn2_saveexec_b64 s[6:7], s[24:25]
	s_cbranch_execz .LBB18_44
; %bb.31:
	v_pk_mov_b32 v[4:5], 0, 0
	s_and_saveexec_b64 s[24:25], s[0:1]
; %bb.32:
	s_add_u32 s26, s10, 1
	s_addc_u32 s27, s11, 0
	s_mul_i32 s27, s27, s33
	s_mul_hi_u32 s28, s26, s33
	s_add_i32 s27, s28, s27
	s_mul_i32 s26, s26, s33
	v_pk_mov_b32 v[4:5], s[26:27], s[26:27] op_sel:[0,1]
; %bb.33:
	s_or_b64 exec, exec, s[24:25]
	s_mov_b64 s[24:25], -1
	s_cmpk_lg_i32 s8, 0x7a
	v_lshlrev_b64 v[4:5], 2, v[4:5]
	s_cbranch_scc0 .LBB18_39
; %bb.34:
	s_add_i32 s26, s33, -1
	s_lshl_b32 s27, s33, 2
	s_lshl_b64 s[24:25], s[16:17], 2
	s_lshl_b64 s[28:29], s[18:19], 2
	s_add_u32 s28, s24, s28
	s_addc_u32 s29, s25, s29
	s_mul_i32 s24, s11, s26
	s_mul_hi_u32 s25, s10, s26
	s_add_i32 s25, s25, s24
	s_mul_i32 s24, s10, s26
	s_lshl_b64 s[24:25], s[24:25], 2
	s_add_u32 s28, s28, s24
	s_addc_u32 s29, s29, s25
	s_lshl_b64 s[24:25], s[14:15], 2
	s_add_u32 s24, s24, s28
	s_addc_u32 s25, s25, s29
	v_ashrrev_i32_e32 v3, 31, v2
	v_mov_b32_e32 v6, s25
	v_add_co_u32_e32 v8, vcc, s24, v4
	v_addc_co_u32_e32 v9, vcc, v6, v5, vcc
	v_lshlrev_b64 v[6:7], 2, v[2:3]
	v_add_co_u32_e32 v3, vcc, v8, v6
	s_lshl_b64 s[24:25], s[10:11], 2
	v_addc_co_u32_e32 v7, vcc, v9, v7, vcc
	s_sub_u32 s28, 0, s24
	v_sub_u32_e32 v1, s26, v2
	v_mov_b32_e32 v8, s23
	v_add_co_u32_e32 v6, vcc, s22, v3
	s_subb_u32 s24, 0, s25
	v_lshl_add_u32 v1, v1, 2, v12
	v_addc_co_u32_e32 v7, vcc, v8, v7, vcc
	v_mov_b32_e32 v3, s24
	s_branch .LBB18_36
.LBB18_35:                              ;   in Loop: Header=BB18_36 Depth=1
	s_or_b64 exec, exec, s[24:25]
	s_add_i32 s26, s26, -1
	v_add_co_u32_e32 v6, vcc, s28, v6
	s_waitcnt vmcnt(0)
	ds_write_b32 v1, v8
	v_add_u32_e32 v1, s27, v1
	s_cmp_eq_u32 s26, -1
	v_addc_co_u32_e32 v7, vcc, v7, v3, vcc
	s_cbranch_scc1 .LBB18_38
.LBB18_36:                              ; =>This Inner Loop Header: Depth=1
	v_cmp_ge_i32_e32 vcc, s26, v2
	v_mov_b32_e32 v8, 0
	s_and_saveexec_b64 s[24:25], vcc
	s_cbranch_execz .LBB18_35
; %bb.37:                               ;   in Loop: Header=BB18_36 Depth=1
	global_load_dword v8, v[6:7], off
	s_branch .LBB18_35
.LBB18_38:
	s_mov_b64 s[24:25], 0
.LBB18_39:
	s_and_b64 vcc, exec, s[24:25]
	s_cbranch_vccz .LBB18_44
; %bb.40:
	s_lshl_b32 s24, s33, 2
	s_lshl_b64 s[16:17], s[16:17], 2
	s_lshl_b64 s[18:19], s[18:19], 2
	s_add_u32 s16, s16, s18
	s_addc_u32 s17, s17, s19
	s_lshl_b64 s[14:15], s[14:15], 2
	s_add_u32 s14, s14, s16
	s_addc_u32 s15, s15, s17
	v_ashrrev_i32_e32 v3, 31, v2
	v_mov_b32_e32 v6, s15
	v_add_co_u32_e32 v7, vcc, s14, v4
	v_addc_co_u32_e32 v6, vcc, v6, v5, vcc
	v_lshlrev_b64 v[4:5], 2, v[2:3]
	v_add_co_u32_e32 v3, vcc, v7, v4
	v_addc_co_u32_e32 v5, vcc, v6, v5, vcc
	v_mov_b32_e32 v6, s23
	v_add_co_u32_e32 v4, vcc, s22, v3
	s_lshl_b64 s[10:11], s[10:11], 2
	v_lshl_add_u32 v1, v2, 2, v12
	v_addc_co_u32_e32 v5, vcc, v6, v5, vcc
	s_mov_b32 s16, 0
	v_mov_b32_e32 v3, s11
	s_branch .LBB18_42
.LBB18_41:                              ;   in Loop: Header=BB18_42 Depth=1
	s_or_b64 exec, exec, s[14:15]
	s_add_i32 s16, s16, 1
	v_add_co_u32_e32 v4, vcc, s10, v4
	s_waitcnt vmcnt(0)
	ds_write_b32 v1, v6
	v_add_u32_e32 v1, s24, v1
	s_cmp_eq_u32 s33, s16
	v_addc_co_u32_e32 v5, vcc, v5, v3, vcc
	s_cbranch_scc1 .LBB18_44
.LBB18_42:                              ; =>This Inner Loop Header: Depth=1
	v_cmp_le_i32_e32 vcc, s16, v2
	v_mov_b32_e32 v6, 0
	s_and_saveexec_b64 s[14:15], vcc
	s_cbranch_execz .LBB18_41
; %bb.43:                               ;   in Loop: Header=BB18_42 Depth=1
	global_load_dword v6, v[4:5], off
	s_branch .LBB18_41
.LBB18_44:
	s_or_b64 exec, exec, s[6:7]
	s_waitcnt lgkmcnt(0)
	s_barrier
	s_and_saveexec_b64 s[6:7], s[2:3]
	s_cbranch_execz .LBB18_50
; %bb.45:
	s_add_i32 s10, s33, 1
	v_mul_i32_i24_e32 v1, s10, v2
	s_cmpk_eq_i32 s9, 0x84
	v_lshl_add_u32 v1, v1, 2, v12
	v_mov_b32_e32 v4, 1.0
	s_cbranch_scc1 .LBB18_49
; %bb.46:
	ds_read_b32 v3, v1
	v_mov_b32_e32 v4, 1.0
	s_waitcnt lgkmcnt(0)
	v_cmp_neq_f32_e32 vcc, 0, v3
	s_and_saveexec_b64 s[10:11], vcc
; %bb.47:
	v_div_scale_f32 v4, s[14:15], v3, v3, 1.0
	v_rcp_f32_e32 v5, v4
	v_div_scale_f32 v6, vcc, 1.0, v3, 1.0
	v_fma_f32 v7, -v4, v5, 1.0
	v_fmac_f32_e32 v5, v7, v5
	v_mul_f32_e32 v7, v6, v5
	v_fma_f32 v8, -v4, v7, v6
	v_fmac_f32_e32 v7, v8, v5
	v_fma_f32 v4, -v4, v7, v6
	v_div_fmas_f32 v4, v4, v5, v7
	v_div_fixup_f32 v4, v4, v3, 1.0
; %bb.48:
	s_or_b64 exec, exec, s[10:11]
.LBB18_49:
	ds_write_b32 v1, v4
.LBB18_50:
	s_or_b64 exec, exec, s[6:7]
	s_waitcnt lgkmcnt(0)
	s_barrier
	s_and_saveexec_b64 s[6:7], s[2:3]
	s_cbranch_execz .LBB18_62
; %bb.51:
	s_add_i32 s9, s33, 1
	v_lshlrev_b32_e32 v5, 2, v2
	v_mul_i32_i24_e32 v3, s9, v2
	s_lshl_b32 s9, s33, 2
	v_add_u32_e32 v1, v12, v5
	v_lshl_add_u32 v3, v3, 2, v12
	v_add_u32_e32 v4, 4, v12
	s_add_i32 s14, s9, 4
	v_add3_u32 v5, v5, s9, v12
	s_mov_b32 s15, 0
	s_branch .LBB18_53
.LBB18_52:                              ;   in Loop: Header=BB18_53 Depth=1
	v_add_u32_e32 v4, s14, v4
	s_cmp_eq_u32 s15, s33
	v_add_u32_e32 v5, s9, v5
	s_cbranch_scc1 .LBB18_62
.LBB18_53:                              ; =>This Loop Header: Depth=1
                                        ;     Child Loop BB18_58 Depth 2
	v_cmp_lt_i32_e32 vcc, s15, v2
	s_mul_i32 s16, s15, s33
	v_mov_b32_e32 v6, 0
	s_and_saveexec_b64 s[10:11], vcc
	s_cbranch_execz .LBB18_55
; %bb.54:                               ;   in Loop: Header=BB18_53 Depth=1
	s_lshl_b32 s17, s15, 2
	s_lshl_b32 s18, s16, 2
	s_add_i32 s17, s18, s17
	v_add_u32_e32 v6, s17, v12
	v_add_u32_e32 v7, s18, v1
	ds_read_b32 v7, v7
	ds_read_b32 v6, v6
	s_waitcnt lgkmcnt(0)
	v_fma_f32 v6, v7, v6, 0
.LBB18_55:                              ;   in Loop: Header=BB18_53 Depth=1
	s_or_b64 exec, exec, s[10:11]
	s_add_i32 s15, s15, 1
	s_cmp_ge_u32 s15, s33
	s_cbranch_scc1 .LBB18_52
; %bb.56:                               ;   in Loop: Header=BB18_53 Depth=1
	v_lshl_add_u32 v7, s16, 2, v1
	v_mov_b32_e32 v8, v5
	v_mov_b32_e32 v9, v4
	s_mov_b32 s16, s15
	s_branch .LBB18_58
.LBB18_57:                              ;   in Loop: Header=BB18_58 Depth=2
	s_or_b64 exec, exec, s[10:11]
	s_add_i32 s16, s16, 1
	v_add_u32_e32 v9, 4, v9
	s_cmp_ge_u32 s16, s33
	v_add_u32_e32 v8, s9, v8
	s_cbranch_scc1 .LBB18_52
.LBB18_58:                              ;   Parent Loop BB18_53 Depth=1
                                        ; =>  This Inner Loop Header: Depth=2
	v_cmp_eq_u32_e32 vcc, s16, v2
	s_and_saveexec_b64 s[10:11], vcc
	s_cbranch_execz .LBB18_60
; %bb.59:                               ;   in Loop: Header=BB18_58 Depth=2
	ds_read_b32 v10, v3
	s_waitcnt lgkmcnt(0)
	v_mul_f32_e64 v10, -v6, v10
	ds_write_b32 v7, v10
.LBB18_60:                              ;   in Loop: Header=BB18_58 Depth=2
	s_or_b64 exec, exec, s[10:11]
	v_cmp_lt_i32_e32 vcc, s16, v2
	s_and_saveexec_b64 s[10:11], vcc
	s_cbranch_execz .LBB18_57
; %bb.61:                               ;   in Loop: Header=BB18_58 Depth=2
	ds_read_b32 v10, v8
	ds_read_b32 v11, v9
	s_waitcnt lgkmcnt(0)
	v_fmac_f32_e32 v6, v10, v11
	s_branch .LBB18_57
.LBB18_62:
	s_or_b64 exec, exec, s[6:7]
	s_and_b32 s6, s33, 0xffff
	v_cvt_f32_u32_e32 v1, s6
	v_cvt_f32_ubyte0_e32 v3, v0
	s_cmpk_lg_i32 s8, 0x7a
	s_cselect_b64 s[16:17], -1, 0
	v_rcp_iflag_f32_e32 v4, v1
	s_mul_i32 s6, s33, s33
	v_cmp_gt_u32_e64 s[6:7], s6, v0
	s_waitcnt lgkmcnt(0)
	v_mul_f32_e32 v4, v3, v4
	v_trunc_f32_e32 v4, v4
	v_cvt_u32_f32_e32 v5, v4
	v_mad_f32 v3, -v4, v1, v3
	v_cmp_ge_f32_e64 vcc, |v3|, v1
	s_barrier
	v_addc_co_u32_e32 v1, vcc, 0, v5, vcc
	v_and_b32_e32 v3, 0xffff, v1
	v_mul_lo_u16_e32 v1, s33, v1
	v_sub_u16_e32 v1, v0, v1
	s_and_b64 vcc, exec, s[16:17]
	s_cbranch_vccz .LBB18_74
; %bb.63:
	s_mov_b64 s[8:9], 0
	s_mov_b64 s[14:15], 0
                                        ; implicit-def: $vgpr0
                                        ; implicit-def: $vgpr4
	s_and_saveexec_b64 s[10:11], s[6:7]
	s_cbranch_execz .LBB18_73
; %bb.64:
	v_add_u32_e32 v6, 1, v3
	v_cmp_lt_u16_e32 vcc, 6, v3
	v_mov_b32_e32 v0, 0
	v_mov_b32_e32 v4, 0
	v_lshlrev_b32_e32 v5, 6, v3
	s_and_saveexec_b64 s[14:15], vcc
	s_cbranch_execz .LBB18_68
; %bb.65:
	v_and_b32_e32 v4, 0x7f8, v6
	v_lshlrev_b32_e32 v7, 2, v1
	v_sub_u32_e32 v8, 0xfe0, v5
	s_mov_b32 s22, 0
	s_mov_b64 s[18:19], 0
	v_mov_b32_e32 v0, 0
.LBB18_66:                              ; =>This Inner Loop Header: Depth=1
	ds_read2_b32 v[10:11], v7 offset1:16
	ds_read_b128 v[14:17], v8
	ds_read_b128 v[18:21], v8 offset:16
	ds_read2_b32 v[22:23], v7 offset0:32 offset1:48
	ds_read2_b32 v[24:25], v7 offset0:64 offset1:80
	;; [unrolled: 1-line block ×3, first 2 shown]
	s_add_i32 s22, s22, 8
	s_waitcnt lgkmcnt(3)
	v_fmac_f32_e32 v0, v10, v21
	v_fmac_f32_e32 v0, v11, v20
	s_waitcnt lgkmcnt(2)
	v_fmac_f32_e32 v0, v22, v19
	v_fmac_f32_e32 v0, v23, v18
	;; [unrolled: 3-line block ×3, first 2 shown]
	v_cmp_eq_u32_e32 vcc, s22, v4
	s_waitcnt lgkmcnt(0)
	v_fmac_f32_e32 v0, v26, v15
	v_add_u32_e32 v7, 0x200, v7
	v_subrev_u32_e32 v8, 32, v8
	s_or_b64 s[18:19], vcc, s[18:19]
	v_fmac_f32_e32 v0, v27, v14
	s_andn2_b64 exec, exec, s[18:19]
	s_cbranch_execnz .LBB18_66
; %bb.67:
	s_or_b64 exec, exec, s[18:19]
.LBB18_68:
	s_or_b64 exec, exec, s[14:15]
	v_and_b32_e32 v6, 7, v6
	v_cmp_ne_u32_e32 vcc, 0, v6
	s_and_saveexec_b64 s[14:15], vcc
	s_cbranch_execz .LBB18_72
; %bb.69:
	v_lshl_add_u32 v5, v4, 2, v5
	v_lshlrev_b32_e32 v7, 2, v1
	v_sub_u32_e32 v5, 0xffc, v5
	v_lshl_add_u32 v4, v4, 6, v7
	s_mov_b64 s[18:19], 0
.LBB18_70:                              ; =>This Inner Loop Header: Depth=1
	ds_read_b32 v7, v4
	ds_read_b32 v8, v5
	v_add_u32_e32 v6, -1, v6
	v_cmp_eq_u32_e32 vcc, 0, v6
	v_add_u32_e32 v5, -4, v5
	v_add_u32_e32 v4, 64, v4
	s_or_b64 s[18:19], vcc, s[18:19]
	s_waitcnt lgkmcnt(0)
	v_fmac_f32_e32 v0, v7, v8
	s_andn2_b64 exec, exec, s[18:19]
	s_cbranch_execnz .LBB18_70
; %bb.71:
	s_or_b64 exec, exec, s[18:19]
.LBB18_72:
	s_or_b64 exec, exec, s[14:15]
	s_mov_b64 s[14:15], exec
	v_lshlrev_b32_e32 v4, 4, v3
.LBB18_73:
	s_or_b64 exec, exec, s[10:11]
	s_and_b64 vcc, exec, s[8:9]
	s_cbranch_vccnz .LBB18_75
	s_branch .LBB18_82
.LBB18_74:
	s_mov_b64 s[14:15], 0
                                        ; implicit-def: $vgpr0
                                        ; implicit-def: $vgpr4
	s_cbranch_execz .LBB18_82
.LBB18_75:
                                        ; implicit-def: $vgpr0
                                        ; implicit-def: $vgpr4
	s_and_saveexec_b64 s[8:9], s[6:7]
	s_cbranch_execz .LBB18_81
; %bb.76:
	v_cmp_gt_u16_e32 vcc, 16, v3
	v_mov_b32_e32 v0, 0
	s_and_saveexec_b64 s[10:11], vcc
	s_cbranch_execz .LBB18_80
; %bb.77:
	v_lshlrev_b32_e32 v0, 2, v1
	v_lshl_add_u32 v4, v3, 6, v0
	s_movk_i32 s18, 0x44
	v_mov_b32_e32 v0, 0x800
	v_add_u32_e32 v5, -1, v3
	v_mad_u32_u24 v6, v3, s18, v0
	s_mov_b64 s[18:19], 0
	v_mov_b32_e32 v0, 0
.LBB18_78:                              ; =>This Inner Loop Header: Depth=1
	ds_read_b32 v7, v4
	ds_read_b32 v8, v6
	v_add_u32_e32 v5, 1, v5
	v_cmp_lt_u32_e32 vcc, 14, v5
	v_add_u32_e32 v4, 64, v4
	v_add_u32_e32 v6, 4, v6
	s_or_b64 s[18:19], vcc, s[18:19]
	s_waitcnt lgkmcnt(0)
	v_fmac_f32_e32 v0, v7, v8
	s_andn2_b64 exec, exec, s[18:19]
	s_cbranch_execnz .LBB18_78
; %bb.79:
	s_or_b64 exec, exec, s[18:19]
.LBB18_80:
	s_or_b64 exec, exec, s[10:11]
	v_lshlrev_b32_e32 v4, 4, v3
	s_or_b64 s[14:15], s[14:15], exec
.LBB18_81:
	s_or_b64 exec, exec, s[8:9]
.LBB18_82:
	s_and_saveexec_b64 s[8:9], s[14:15]
	s_cbranch_execz .LBB18_84
; %bb.83:
	v_add_lshl_u32 v4, v4, v1, 2
	ds_write_b32 v4, v0 offset:1024
.LBB18_84:
	s_or_b64 exec, exec, s[8:9]
	s_load_dword s8, s[4:5], 0x48
	s_load_dwordx2 s[14:15], s[4:5], 0x58
	s_lshl_b64 s[4:5], s[20:21], 2
	s_waitcnt lgkmcnt(0)
	s_barrier
	s_ashr_i32 s9, s8, 31
	s_add_u32 s22, s12, s4
	s_addc_u32 s23, s13, s5
	s_lshl_b64 s[10:11], s[8:9], 5
	s_add_u32 s10, s10, 32
	s_addc_u32 s11, s11, 0
	s_mul_hi_u32 s18, s10, s39
	s_mul_i32 s11, s11, s39
	s_add_i32 s19, s18, s11
	s_mul_i32 s18, s10, s39
	s_lshl_b64 s[10:11], s[18:19], 2
	s_add_u32 s24, s22, s10
	s_mul_i32 s15, s38, s15
	s_mul_hi_u32 s22, s38, s14
	s_addc_u32 s25, s23, s11
	s_add_i32 s23, s22, s15
	s_mul_i32 s22, s38, s14
	s_lshl_b64 s[14:15], s[22:23], 2
	s_add_u32 s28, s24, s14
	s_addc_u32 s29, s25, s15
	s_mov_b64 s[24:25], -1
	s_and_b64 vcc, exec, s[16:17]
	s_cbranch_vccnz .LBB18_87
; %bb.85:
	s_andn2_b64 vcc, exec, s[24:25]
	s_cbranch_vccz .LBB18_92
.LBB18_86:
	s_and_saveexec_b64 s[6:7], s[2:3]
	s_cbranch_execnz .LBB18_103
	s_branch .LBB18_126
.LBB18_87:
	s_and_saveexec_b64 s[24:25], s[6:7]
	s_cbranch_execz .LBB18_91
; %bb.88:
	v_mad_u32_u24 v0, s33, v3, v1
	v_mov_b32_e32 v4, 0x400
	v_lshl_add_u32 v6, v0, 2, v4
	v_sub_u32_e32 v0, s33, v1
	v_mul_i32_i24_e32 v0, s33, v0
	v_lshlrev_b32_e32 v0, 2, v0
	v_lshlrev_b32_e32 v4, 2, v1
	v_sub_u32_e32 v0, v0, v4
	s_lshl_b32 s26, s33, 2
	v_add_u32_e32 v5, -1, v1
	v_add_u32_e32 v7, 0x7fc, v0
	s_sub_i32 s30, 0, s26
	s_mov_b64 s[26:27], 0
	v_mov_b32_e32 v0, 0
.LBB18_89:                              ; =>This Inner Loop Header: Depth=1
	ds_read_b32 v8, v7
	ds_read_b32 v9, v6
	v_add_u32_e32 v5, 1, v5
	v_cmp_lt_u32_e32 vcc, 14, v5
	v_add_u32_e32 v6, 4, v6
	v_add_u32_e32 v7, s30, v7
	s_or_b64 s[26:27], vcc, s[26:27]
	s_waitcnt lgkmcnt(0)
	v_fma_f32 v0, -v8, v9, v0
	s_andn2_b64 exec, exec, s[26:27]
	s_cbranch_execnz .LBB18_89
; %bb.90:
	s_or_b64 exec, exec, s[26:27]
	s_mul_hi_i32 s27, s33, s8
	s_mul_i32 s26, s33, s8
	s_lshl_b64 s[26:27], s[26:27], 2
	s_add_u32 s26, s28, s26
	s_addc_u32 s27, s29, s27
	v_mad_i64_i32 v[6:7], s[30:31], v3, s8, 0
	v_mov_b32_e32 v5, s27
	v_add_co_u32_e32 v8, vcc, s26, v4
	v_addc_co_u32_e32 v9, vcc, 0, v5, vcc
	v_lshlrev_b64 v[4:5], 2, v[6:7]
	v_add_co_u32_e32 v4, vcc, v8, v4
	v_addc_co_u32_e32 v5, vcc, v9, v5, vcc
	global_store_dword v[4:5], v0, off
.LBB18_91:
	s_or_b64 exec, exec, s[24:25]
	s_cbranch_execnz .LBB18_86
.LBB18_92:
	s_and_saveexec_b64 s[24:25], s[6:7]
	s_cbranch_execz .LBB18_102
; %bb.93:
	v_mul_u32_u24_e32 v13, s33, v3
	v_add_u32_e32 v15, 1, v1
	v_cmp_lt_u16_e32 vcc, 6, v1
	v_mov_b32_e32 v5, 0
	v_mov_b32_e32 v14, 0
	s_and_saveexec_b64 s[6:7], vcc
	s_cbranch_execz .LBB18_97
; %bb.94:
	v_mov_b32_e32 v0, 0x400
	v_lshl_add_u32 v16, v13, 2, v0
	v_mov_b32_e32 v0, 0xc00
	v_lshl_add_u32 v0, v1, 2, v0
	v_mad_u64_u32 v[4:5], s[26:27], s33, 12, v[0:1]
	v_mad_u64_u32 v[6:7], s[26:27], s33, 20, v[0:1]
	v_mad_u64_u32 v[8:9], s[26:27], s33, 24, v[0:1]
	v_mad_u64_u32 v[10:11], s[26:27], s33, 28, v[0:1]
	v_and_b32_e32 v14, 56, v15
	v_lshl_add_u32 v17, s33, 2, v0
	s_lshl_b32 s30, s33, 5
	v_lshl_add_u32 v18, s33, 3, v0
	v_lshl_add_u32 v19, s33, 4, v0
	s_mov_b32 s31, 0
	s_mov_b64 s[26:27], 0
	v_mov_b32_e32 v5, 0
.LBB18_95:                              ; =>This Inner Loop Header: Depth=1
	ds_read_b32 v7, v17
	ds_read_b32 v9, v18
	;; [unrolled: 1-line block ×6, first 2 shown]
	ds_read2_b32 v[20:21], v16 offset1:1
	ds_read2_b32 v[22:23], v16 offset0:2 offset1:3
	ds_read2_b32 v[24:25], v16 offset0:4 offset1:5
	;; [unrolled: 1-line block ×3, first 2 shown]
	ds_read_b32 v31, v0
	ds_read_b32 v32, v10
	s_add_i32 s31, s31, 8
	v_cmp_eq_u32_e32 vcc, s31, v14
	v_add_u32_e32 v16, 32, v16
	s_waitcnt lgkmcnt(1)
	v_fma_f32 v5, -v31, v20, v5
	v_fma_f32 v5, -v7, v21, v5
	;; [unrolled: 1-line block ×7, first 2 shown]
	v_add_u32_e32 v17, s30, v17
	v_add_u32_e32 v18, s30, v18
	;; [unrolled: 1-line block ×8, first 2 shown]
	s_or_b64 s[26:27], vcc, s[26:27]
	s_waitcnt lgkmcnt(0)
	v_fma_f32 v5, -v32, v27, v5
	s_andn2_b64 exec, exec, s[26:27]
	s_cbranch_execnz .LBB18_95
; %bb.96:
	s_or_b64 exec, exec, s[26:27]
.LBB18_97:
	s_or_b64 exec, exec, s[6:7]
	v_and_b32_e32 v0, 7, v15
	v_cmp_ne_u32_e32 vcc, 0, v0
	s_and_saveexec_b64 s[6:7], vcc
	s_cbranch_execz .LBB18_101
; %bb.98:
	v_add_u32_e32 v4, v13, v14
	v_mov_b32_e32 v6, 0x400
	v_lshl_add_u32 v4, v4, 2, v6
	v_mad_u32_u24 v6, v14, s33, v1
	v_mov_b32_e32 v7, 0xc00
	v_lshl_add_u32 v6, v6, 2, v7
	s_lshl_b32 s30, s33, 2
	s_mov_b64 s[26:27], 0
.LBB18_99:                              ; =>This Inner Loop Header: Depth=1
	ds_read_b32 v7, v6
	ds_read_b32 v8, v4
	v_add_u32_e32 v0, -1, v0
	v_cmp_eq_u32_e32 vcc, 0, v0
	v_add_u32_e32 v4, 4, v4
	v_add_u32_e32 v6, s30, v6
	s_or_b64 s[26:27], vcc, s[26:27]
	s_waitcnt lgkmcnt(0)
	v_fma_f32 v5, -v7, v8, v5
	s_andn2_b64 exec, exec, s[26:27]
	s_cbranch_execnz .LBB18_99
; %bb.100:
	s_or_b64 exec, exec, s[26:27]
.LBB18_101:
	s_or_b64 exec, exec, s[6:7]
	v_mad_i64_i32 v[6:7], s[6:7], v3, s8, 0
	v_lshlrev_b64 v[6:7], 2, v[6:7]
	v_mov_b32_e32 v0, s29
	v_add_co_u32_e32 v3, vcc, s28, v6
	v_addc_co_u32_e32 v4, vcc, v0, v7, vcc
	v_add_lshl_u32 v0, s33, v1, 2
	v_add_co_u32_e32 v0, vcc, v3, v0
	v_addc_co_u32_e32 v1, vcc, 0, v4, vcc
	global_store_dword v[0:1], v5, off
.LBB18_102:
	s_or_b64 exec, exec, s[24:25]
	s_and_saveexec_b64 s[6:7], s[2:3]
	s_cbranch_execz .LBB18_126
.LBB18_103:
	v_pk_mov_b32 v[0:1], 0, 0
	s_and_saveexec_b64 s[2:3], s[0:1]
	s_cbranch_execnz .LBB18_106
; %bb.104:
	s_or_b64 exec, exec, s[2:3]
	s_mov_b64 s[0:1], -1
	s_and_b64 vcc, exec, s[16:17]
	s_cbranch_vccnz .LBB18_107
.LBB18_105:
	s_andn2_b64 vcc, exec, s[0:1]
	s_cbranch_vccz .LBB18_116
	s_branch .LBB18_126
.LBB18_106:
	s_add_u32 s0, s8, 1
	s_addc_u32 s1, s9, 0
	s_mul_i32 s1, s1, s33
	s_mul_hi_u32 s6, s0, s33
	s_add_i32 s1, s6, s1
	s_mul_i32 s0, s0, s33
	v_pk_mov_b32 v[0:1], s[0:1], s[0:1] op_sel:[0,1]
	s_or_b64 exec, exec, s[2:3]
	s_mov_b64 s[0:1], -1
	s_and_b64 vcc, exec, s[16:17]
	s_cbranch_vccz .LBB18_105
.LBB18_107:
	v_cmp_gt_i32_e32 vcc, s33, v2
	s_and_saveexec_b64 s[2:3], vcc
	s_cbranch_execz .LBB18_115
; %bb.108:
	s_add_i32 s24, s33, -1
	v_ashrrev_i32_e32 v3, 31, v2
	v_sub_u32_e32 v6, s33, v2
	v_cmp_lt_u32_e32 vcc, 1, v6
	v_mov_b32_e32 v8, s24
	v_lshlrev_b64 v[4:5], 2, v[2:3]
	s_and_saveexec_b64 s[6:7], vcc
	s_cbranch_execz .LBB18_112
; %bb.109:
	v_lshlrev_b64 v[8:9], 2, v[0:1]
	v_mov_b32_e32 v7, s29
	v_add_co_u32_e32 v8, vcc, s28, v8
	v_addc_co_u32_e32 v7, vcc, v7, v9, vcc
	v_add_co_u32_e32 v8, vcc, v8, v4
	v_sub_u32_e32 v3, s24, v2
	v_addc_co_u32_e32 v9, vcc, v7, v5, vcc
	v_and_b32_e32 v7, -2, v6
	v_lshl_add_u32 v3, v3, 2, v12
	s_mov_b32 s25, s24
	s_add_i32 s26, s24, -1
	s_mov_b32 s27, s24
	s_mov_b32 s28, s33
	s_mov_b32 s29, s8
	s_mov_b32 s30, s9
	s_mov_b64 s[16:17], 0
	v_mov_b32_e32 v10, v7
.LBB18_110:                             ; =>This Inner Loop Header: Depth=1
	s_sub_i32 s1, s24, s27
	s_sub_i32 s31, s25, s26
	s_ashr_i32 s35, s27, 31
	s_ashr_i32 s36, s26, 31
	s_mul_i32 s31, s31, s28
	s_mul_i32 s1, s1, s33
	s_mul_hi_u32 s37, s29, s26
	s_mul_hi_u32 s39, s8, s27
	s_mul_i32 s36, s29, s36
	s_mul_i32 s35, s8, s35
	v_lshl_add_u32 v11, s1, 2, v3
	v_lshl_add_u32 v13, s31, 2, v3
	s_mul_i32 s38, s30, s26
	s_mul_i32 s40, s9, s27
	s_add_i32 s1, s37, s36
	s_add_i32 s31, s39, s35
	ds_read_b32 v11, v11
	ds_read_b32 v13, v13
	s_mul_i32 s0, s29, s26
	s_mul_i32 s34, s8, s27
	v_add_u32_e32 v10, -2, v10
	s_add_i32 s1, s1, s38
	s_add_i32 s35, s31, s40
	s_add_i32 s26, s26, -2
	s_add_i32 s27, s27, -2
	v_cmp_eq_u32_e32 vcc, 0, v10
	s_lshl_b64 s[34:35], s[34:35], 2
	s_lshl_b64 s[0:1], s[0:1], 2
	v_mov_b32_e32 v15, s35
	s_or_b64 s[16:17], vcc, s[16:17]
	v_add_co_u32_e32 v16, vcc, s34, v8
	v_mov_b32_e32 v18, s1
	v_add_co_u32_e64 v14, s[0:1], s0, v8
	v_addc_co_u32_e32 v17, vcc, v9, v15, vcc
	v_addc_co_u32_e64 v15, vcc, v9, v18, s[0:1]
	s_waitcnt lgkmcnt(1)
	global_store_dword v[16:17], v11, off
	s_waitcnt lgkmcnt(0)
	global_store_dword v[14:15], v13, off
	s_andn2_b64 exec, exec, s[16:17]
	s_cbranch_execnz .LBB18_110
; %bb.111:
	s_or_b64 exec, exec, s[16:17]
	v_cmp_ne_u32_e32 vcc, v6, v7
	v_sub_u32_e32 v8, s24, v7
	s_orn2_b64 s[0:1], vcc, exec
.LBB18_112:
	s_or_b64 exec, exec, s[6:7]
	s_and_b64 exec, exec, s[0:1]
	s_cbranch_execz .LBB18_115
; %bb.113:
	v_mad_i64_i32 v[6:7], s[0:1], v8, s8, 0
	s_lshl_b64 s[0:1], s[22:23], 2
	s_lshl_b64 s[6:7], s[18:19], 2
	s_add_u32 s0, s6, s0
	v_lshlrev_b64 v[6:7], 2, v[6:7]
	s_addc_u32 s1, s7, s1
	v_mov_b32_e32 v9, s1
	v_add_co_u32_e32 v10, vcc, s0, v6
	v_addc_co_u32_e32 v9, vcc, v9, v7, vcc
	v_lshlrev_b64 v[6:7], 2, v[0:1]
	v_add_co_u32_e32 v6, vcc, v10, v6
	v_addc_co_u32_e32 v7, vcc, v9, v7, vcc
	s_lshl_b64 s[0:1], s[20:21], 2
	v_mov_b32_e32 v9, s1
	v_add_co_u32_e32 v6, vcc, s0, v6
	v_addc_co_u32_e32 v7, vcc, v7, v9, vcc
	v_add_co_u32_e32 v4, vcc, v6, v4
	v_addc_co_u32_e32 v5, vcc, v7, v5, vcc
	s_lshl_b64 s[6:7], s[8:9], 2
	v_mov_b32_e32 v6, s13
	v_add_co_u32_e32 v4, vcc, s12, v4
	s_sub_u32 s6, 0, s6
	v_addc_co_u32_e32 v5, vcc, v6, v5, vcc
	s_subb_u32 s16, 0, s7
	s_lshl_b32 s7, s33, 2
	v_lshlrev_b32_e32 v6, 2, v8
	v_sub_u32_e32 v6, s7, v6
	v_mul_lo_u32 v6, s33, v6
	v_lshlrev_b32_e32 v7, 2, v2
	v_sub_u32_e32 v6, v6, v7
	v_add_u32_e32 v3, 1, v8
	s_mov_b64 s[0:1], 0
	v_add3_u32 v6, v6, v12, -4
	v_mov_b32_e32 v7, s16
.LBB18_114:                             ; =>This Inner Loop Header: Depth=1
	ds_read_b32 v8, v6
	v_add_u32_e32 v3, -1, v3
	v_cmp_le_i32_e32 vcc, v3, v2
	s_or_b64 s[0:1], vcc, s[0:1]
	v_add_u32_e32 v6, s7, v6
	s_waitcnt lgkmcnt(0)
	global_store_dword v[4:5], v8, off
	v_add_co_u32_e32 v4, vcc, s6, v4
	v_addc_co_u32_e32 v5, vcc, v5, v7, vcc
	s_andn2_b64 exec, exec, s[0:1]
	s_cbranch_execnz .LBB18_114
.LBB18_115:
	s_or_b64 exec, exec, s[2:3]
	s_cbranch_execnz .LBB18_126
.LBB18_116:
	v_cmp_lt_i32_e32 vcc, -1, v2
	s_and_b64 exec, exec, vcc
	s_cbranch_execz .LBB18_126
; %bb.117:
	s_cmp_lg_u32 s8, 1
	v_mov_b32_e32 v3, 0
	v_cmp_eq_u32_e32 vcc, 0, v2
	s_cselect_b64 s[0:1], -1, 0
	s_mov_b32 s6, 0
	s_or_b64 s[2:3], vcc, s[0:1]
	s_mov_b64 s[0:1], 0
	v_lshlrev_b64 v[6:7], 2, v[0:1]
	v_lshlrev_b64 v[4:5], 2, v[2:3]
	s_and_saveexec_b64 s[16:17], s[2:3]
	s_xor_b64 s[2:3], exec, s[16:17]
; %bb.118:
	s_mov_b64 s[0:1], exec
	v_lshlrev_b64 v[6:7], 2, v[0:1]
	v_lshlrev_b64 v[4:5], 2, v[2:3]
; %bb.119:
	s_or_saveexec_b64 s[2:3], s[2:3]
	v_add_u32_e32 v13, 1, v2
	v_mov_b32_e32 v3, s6
	v_pk_mov_b32 v[0:1], s[14:15], s[14:15] op_sel:[0,1]
	v_pk_mov_b32 v[8:9], s[10:11], s[10:11] op_sel:[0,1]
	;; [unrolled: 1-line block ×3, first 2 shown]
	s_xor_b64 exec, exec, s[2:3]
	s_cbranch_execz .LBB18_123
; %bb.120:
	s_add_u32 s6, s14, s10
	s_addc_u32 s7, s15, s11
	s_add_u32 s6, s4, s6
	s_addc_u32 s7, s5, s7
	v_mov_b32_e32 v0, s7
	v_add_co_u32_e32 v1, vcc, s6, v6
	v_addc_co_u32_e32 v0, vcc, v0, v7, vcc
	v_add_co_u32_e32 v1, vcc, v1, v4
	v_addc_co_u32_e32 v9, vcc, v0, v5, vcc
	v_and_b32_e32 v3, 0x7ffffffe, v13
	v_mov_b32_e32 v10, s13
	v_add_co_u32_e32 v0, vcc, s12, v1
	v_lshl_add_u32 v8, v2, 2, v12
	s_mov_b32 s16, s33
	v_addc_co_u32_e32 v1, vcc, v10, v9, vcc
	s_mov_b32 s17, 1
	s_mov_b32 s18, 0
	s_mov_b64 s[6:7], 0
	v_mov_b32_e32 v9, v3
.LBB18_121:                             ; =>This Inner Loop Header: Depth=1
	s_mul_i32 s19, s17, s16
	s_mul_i32 s20, s18, s33
	v_lshl_add_u32 v10, s20, 2, v8
	v_lshl_add_u32 v11, s19, 2, v8
	ds_read_b32 v10, v10
	ds_read_b32 v11, v11
	v_add_u32_e32 v9, -2, v9
	s_add_i32 s18, s18, 2
	s_add_i32 s17, s17, 2
	v_cmp_eq_u32_e32 vcc, 0, v9
	s_or_b64 s[6:7], vcc, s[6:7]
	s_waitcnt lgkmcnt(0)
	global_store_dwordx2 v[0:1], v[10:11], off
	v_add_co_u32_e32 v0, vcc, 8, v0
	v_addc_co_u32_e32 v1, vcc, 0, v1, vcc
	s_andn2_b64 exec, exec, s[6:7]
	s_cbranch_execnz .LBB18_121
; %bb.122:
	s_or_b64 exec, exec, s[6:7]
	v_cmp_ne_u32_e32 vcc, v13, v3
	v_pk_mov_b32 v[10:11], s[4:5], s[4:5] op_sel:[0,1]
	s_andn2_b64 s[0:1], s[0:1], exec
	s_and_b64 s[4:5], vcc, exec
	v_pk_mov_b32 v[0:1], s[14:15], s[14:15] op_sel:[0,1]
	v_pk_mov_b32 v[8:9], s[10:11], s[10:11] op_sel:[0,1]
	s_or_b64 s[0:1], s[0:1], s[4:5]
.LBB18_123:
	s_or_b64 exec, exec, s[2:3]
	s_and_b64 exec, exec, s[0:1]
	s_cbranch_execz .LBB18_126
; %bb.124:
	v_mad_u64_u32 v[14:15], s[0:1], s8, v3, 0
	v_mov_b32_e32 v16, v15
	v_mad_u64_u32 v[16:17], s[0:1], s9, v3, v[16:17]
	v_mov_b32_e32 v15, v16
	v_lshlrev_b64 v[14:15], 2, v[14:15]
	v_add_co_u32_e32 v0, vcc, v0, v14
	v_addc_co_u32_e32 v1, vcc, v1, v15, vcc
	v_add_co_u32_e32 v0, vcc, v0, v8
	v_addc_co_u32_e32 v1, vcc, v1, v9, vcc
	v_add_co_u32_e32 v0, vcc, v0, v6
	v_addc_co_u32_e32 v1, vcc, v1, v7, vcc
	v_add_co_u32_e32 v0, vcc, v0, v10
	v_addc_co_u32_e32 v1, vcc, v1, v11, vcc
	v_add_co_u32_e32 v0, vcc, v0, v4
	v_sub_u32_e32 v13, v13, v3
	v_addc_co_u32_e32 v1, vcc, v1, v5, vcc
	v_mul_lo_u32 v3, v3, s33
	v_mov_b32_e32 v4, s13
	v_add_co_u32_e32 v0, vcc, s12, v0
	s_lshl_b64 s[0:1], s[8:9], 2
	v_lshlrev_b32_e32 v3, 2, v3
	v_lshlrev_b32_e32 v2, 2, v2
	v_addc_co_u32_e32 v1, vcc, v4, v1, vcc
	v_add3_u32 v2, v3, v2, v12
	s_lshl_b32 s4, s33, 2
	s_mov_b64 s[2:3], 0
	v_mov_b32_e32 v3, s1
.LBB18_125:                             ; =>This Inner Loop Header: Depth=1
	ds_read_b32 v4, v2
	v_add_u32_e32 v13, -1, v13
	v_cmp_eq_u32_e32 vcc, 0, v13
	s_or_b64 s[2:3], vcc, s[2:3]
	v_add_u32_e32 v2, s4, v2
	s_waitcnt lgkmcnt(0)
	global_store_dword v[0:1], v4, off
	v_add_co_u32_e32 v0, vcc, s0, v0
	v_addc_co_u32_e32 v1, vcc, v1, v3, vcc
	s_andn2_b64 exec, exec, s[2:3]
	s_cbranch_execnz .LBB18_125
.LBB18_126:
	s_endpgm
	.section	.rodata,"a",@progbits
	.p2align	6, 0x0
	.amdhsa_kernel _ZL29rocblas_trtri_diagonal_kernelILi16EfPKPKfPKPfEv13rocblas_fill_17rocblas_diagonal_iT1_lillT2_lilli
		.amdhsa_group_segment_fixed_size 4096
		.amdhsa_private_segment_fixed_size 0
		.amdhsa_kernarg_size 100
		.amdhsa_user_sgpr_count 6
		.amdhsa_user_sgpr_private_segment_buffer 1
		.amdhsa_user_sgpr_dispatch_ptr 0
		.amdhsa_user_sgpr_queue_ptr 0
		.amdhsa_user_sgpr_kernarg_segment_ptr 1
		.amdhsa_user_sgpr_dispatch_id 0
		.amdhsa_user_sgpr_flat_scratch_init 0
		.amdhsa_user_sgpr_kernarg_preload_length 0
		.amdhsa_user_sgpr_kernarg_preload_offset 0
		.amdhsa_user_sgpr_private_segment_size 0
		.amdhsa_uses_dynamic_stack 0
		.amdhsa_system_sgpr_private_segment_wavefront_offset 0
		.amdhsa_system_sgpr_workgroup_id_x 1
		.amdhsa_system_sgpr_workgroup_id_y 0
		.amdhsa_system_sgpr_workgroup_id_z 1
		.amdhsa_system_sgpr_workgroup_info 0
		.amdhsa_system_vgpr_workitem_id 0
		.amdhsa_next_free_vgpr 33
		.amdhsa_next_free_sgpr 46
		.amdhsa_accum_offset 36
		.amdhsa_reserve_vcc 1
		.amdhsa_reserve_flat_scratch 0
		.amdhsa_float_round_mode_32 0
		.amdhsa_float_round_mode_16_64 0
		.amdhsa_float_denorm_mode_32 3
		.amdhsa_float_denorm_mode_16_64 3
		.amdhsa_dx10_clamp 1
		.amdhsa_ieee_mode 1
		.amdhsa_fp16_overflow 0
		.amdhsa_tg_split 0
		.amdhsa_exception_fp_ieee_invalid_op 0
		.amdhsa_exception_fp_denorm_src 0
		.amdhsa_exception_fp_ieee_div_zero 0
		.amdhsa_exception_fp_ieee_overflow 0
		.amdhsa_exception_fp_ieee_underflow 0
		.amdhsa_exception_fp_ieee_inexact 0
		.amdhsa_exception_int_div_zero 0
	.end_amdhsa_kernel
	.section	.text._ZL29rocblas_trtri_diagonal_kernelILi16EfPKPKfPKPfEv13rocblas_fill_17rocblas_diagonal_iT1_lillT2_lilli,"axG",@progbits,_ZL29rocblas_trtri_diagonal_kernelILi16EfPKPKfPKPfEv13rocblas_fill_17rocblas_diagonal_iT1_lillT2_lilli,comdat
.Lfunc_end18:
	.size	_ZL29rocblas_trtri_diagonal_kernelILi16EfPKPKfPKPfEv13rocblas_fill_17rocblas_diagonal_iT1_lillT2_lilli, .Lfunc_end18-_ZL29rocblas_trtri_diagonal_kernelILi16EfPKPKfPKPfEv13rocblas_fill_17rocblas_diagonal_iT1_lillT2_lilli
                                        ; -- End function
	.section	.AMDGPU.csdata,"",@progbits
; Kernel info:
; codeLenInByte = 5028
; NumSgprs: 50
; NumVgprs: 33
; NumAgprs: 0
; TotalNumVgprs: 33
; ScratchSize: 0
; MemoryBound: 0
; FloatMode: 240
; IeeeMode: 1
; LDSByteSize: 4096 bytes/workgroup (compile time only)
; SGPRBlocks: 6
; VGPRBlocks: 4
; NumSGPRsForWavesPerEU: 50
; NumVGPRsForWavesPerEU: 33
; AccumOffset: 36
; Occupancy: 8
; WaveLimiterHint : 1
; COMPUTE_PGM_RSRC2:SCRATCH_EN: 0
; COMPUTE_PGM_RSRC2:USER_SGPR: 6
; COMPUTE_PGM_RSRC2:TRAP_HANDLER: 0
; COMPUTE_PGM_RSRC2:TGID_X_EN: 1
; COMPUTE_PGM_RSRC2:TGID_Y_EN: 0
; COMPUTE_PGM_RSRC2:TGID_Z_EN: 1
; COMPUTE_PGM_RSRC2:TIDIG_COMP_CNT: 0
; COMPUTE_PGM_RSRC3_GFX90A:ACCUM_OFFSET: 8
; COMPUTE_PGM_RSRC3_GFX90A:TG_SPLIT: 0
	.section	.text._ZL30rocblas_trtri_remainder_kernelILi16EfPKPKfPKPfEv13rocblas_fill_17rocblas_diagonal_iT1_lillT2_lilli,"axG",@progbits,_ZL30rocblas_trtri_remainder_kernelILi16EfPKPKfPKPfEv13rocblas_fill_17rocblas_diagonal_iT1_lillT2_lilli,comdat
	.globl	_ZL30rocblas_trtri_remainder_kernelILi16EfPKPKfPKPfEv13rocblas_fill_17rocblas_diagonal_iT1_lillT2_lilli ; -- Begin function _ZL30rocblas_trtri_remainder_kernelILi16EfPKPKfPKPfEv13rocblas_fill_17rocblas_diagonal_iT1_lillT2_lilli
	.p2align	8
	.type	_ZL30rocblas_trtri_remainder_kernelILi16EfPKPKfPKPfEv13rocblas_fill_17rocblas_diagonal_iT1_lillT2_lilli,@function
_ZL30rocblas_trtri_remainder_kernelILi16EfPKPKfPKPfEv13rocblas_fill_17rocblas_diagonal_iT1_lillT2_lilli: ; @_ZL30rocblas_trtri_remainder_kernelILi16EfPKPKfPKPfEv13rocblas_fill_17rocblas_diagonal_iT1_lillT2_lilli
; %bb.0:
	s_load_dwordx4 s[12:15], s[4:5], 0x0
	s_waitcnt lgkmcnt(0)
	s_cmp_lt_i32 s14, 1
	s_cbranch_scc1 .LBB19_65
; %bb.1:
	s_load_dwordx4 s[8:11], s[4:5], 0x30
	s_load_dwordx2 s[16:17], s[4:5], 0x40
	s_mov_b32 s0, s7
	s_mov_b32 s1, 0
	s_lshl_b64 s[22:23], s[0:1], 3
	s_waitcnt lgkmcnt(0)
	s_add_u32 s0, s10, s22
	s_addc_u32 s1, s11, s23
	s_load_dwordx2 s[10:11], s[0:1], 0x0
	v_cmp_le_u32_e64 s[2:3], s14, v0
	v_cmp_gt_u32_e64 s[0:1], s14, v0
	s_mov_b64 s[20:21], -1
	s_and_saveexec_b64 s[18:19], s[0:1]
	s_cbranch_execz .LBB19_24
; %bb.2:
	s_load_dwordx4 s[24:27], s[4:5], 0x10
	s_load_dword s20, s[4:5], 0x20
	s_mul_i32 s7, s6, s9
	s_mul_hi_u32 s9, s6, s8
	s_mul_i32 s8, s6, s8
	s_waitcnt lgkmcnt(0)
	s_add_u32 s22, s24, s22
	s_addc_u32 s23, s25, s23
	s_load_dwordx2 s[22:23], s[22:23], 0x0
	s_lshl_b64 s[24:25], s[26:27], 2
	s_waitcnt lgkmcnt(0)
	s_add_u32 s15, s22, s24
	s_addc_u32 s21, s23, s25
	s_add_i32 s9, s9, s7
	s_lshl_b64 s[26:27], s[8:9], 2
	s_add_u32 s7, s15, s26
	s_addc_u32 s15, s21, s27
	s_cmpk_lg_i32 s12, 0x7a
	s_cbranch_scc0 .LBB19_11
; %bb.3:
	s_add_i32 s8, s14, -1
	s_ashr_i32 s21, s20, 31
	v_min_i32_e32 v1, s8, v0
	v_sub_u32_e32 v1, s14, v1
	s_cmp_lg_u32 s14, 1
	v_cmp_gt_u32_e32 vcc, 2, v1
	s_cselect_b64 s[8:9], -1, 0
	s_or_b64 s[8:9], vcc, s[8:9]
	s_mov_b64 s[28:29], 0
	s_and_saveexec_b64 s[30:31], s[8:9]
	s_xor_b64 s[8:9], exec, s[30:31]
	s_cbranch_execz .LBB19_7
; %bb.4:
	s_lshl_b32 s30, s14, 2
	s_ashr_i32 s28, s14, 31
	s_add_u32 s31, s14, -1
	s_addc_u32 s28, s28, -1
	s_mul_i32 s29, s31, s21
	s_mul_hi_u32 s33, s31, s20
	s_add_i32 s29, s33, s29
	s_mul_i32 s28, s28, s20
	s_add_i32 s29, s29, s28
	s_mul_i32 s28, s31, s20
	s_lshl_b64 s[28:29], s[28:29], 2
	s_add_u32 s28, s28, s26
	s_addc_u32 s29, s29, s27
	s_add_u32 s28, s28, s24
	s_addc_u32 s29, s29, s25
	s_add_u32 s28, s22, s28
	s_addc_u32 s29, s23, s29
	s_lshl_b64 s[34:35], s[20:21], 2
	v_lshlrev_b32_e32 v2, 2, v0
	s_sub_u32 s31, 0, s34
	v_sub_u32_e32 v1, s30, v2
	v_mov_b32_e32 v3, s29
	v_add_co_u32_e32 v2, vcc, s28, v2
	s_subb_u32 s33, 0, s35
	v_add_u32_e32 v1, -4, v1
	v_addc_co_u32_e32 v3, vcc, 0, v3, vcc
	s_mov_b64 s[28:29], 0
	v_mov_b32_e32 v4, s33
	s_mov_b32 s33, s14
.LBB19_5:                               ; =>This Inner Loop Header: Depth=1
	global_load_dword v5, v[2:3], off
	v_add_co_u32_e32 v2, vcc, s31, v2
	s_add_i32 s33, s33, -1
	v_addc_co_u32_e32 v3, vcc, v3, v4, vcc
	v_cmp_le_i32_e32 vcc, s33, v0
	s_or_b64 s[28:29], vcc, s[28:29]
	s_waitcnt vmcnt(0)
	ds_write_b32 v1, v5
	v_add_u32_e32 v1, s30, v1
	s_andn2_b64 exec, exec, s[28:29]
	s_cbranch_execnz .LBB19_5
; %bb.6:
	s_or_b64 exec, exec, s[28:29]
	s_mov_b64 s[28:29], exec
.LBB19_7:
	s_andn2_saveexec_b64 s[30:31], s[8:9]
	s_cbranch_execz .LBB19_10
; %bb.8:
	v_lshlrev_b32_e32 v3, 2, v0
	v_mov_b32_e32 v2, s15
	v_add_co_u32_e32 v1, vcc, s7, v3
	v_addc_co_u32_e32 v2, vcc, 0, v2, vcc
	s_mov_b32 s33, s20
	s_mov_b32 s34, s21
	;; [unrolled: 1-line block ×3, first 2 shown]
	v_sub_u32_e32 v3, 0, v3
	s_mov_b32 s36, -1
.LBB19_9:                               ; =>This Inner Loop Header: Depth=1
	s_ashr_i32 s9, s35, 31
	s_ashr_i32 s37, s36, 31
	s_mul_hi_u32 s39, s33, s36
	s_mul_hi_u32 s41, s20, s35
	s_mul_i32 s37, s33, s37
	s_mul_i32 s9, s20, s9
	;; [unrolled: 1-line block ×4, first 2 shown]
	s_add_i32 s37, s39, s37
	s_add_i32 s39, s41, s9
	s_mul_i32 s8, s33, s36
	s_mul_i32 s38, s20, s35
	s_add_i32 s9, s37, s40
	s_add_i32 s39, s39, s42
	s_lshl_b64 s[38:39], s[38:39], 2
	s_lshl_b64 s[8:9], s[8:9], 2
	v_mov_b32_e32 v5, s39
	v_mov_b32_e32 v8, s9
	v_add_co_u32_e32 v4, vcc, s8, v1
	v_add_co_u32_e64 v6, s[8:9], s38, v1
	v_addc_co_u32_e64 v7, s[8:9], v2, v5, s[8:9]
	v_addc_co_u32_e32 v5, vcc, v2, v8, vcc
	global_load_dword v8, v[6:7], off
	global_load_dword v9, v[4:5], off
	s_add_i32 s35, s35, -2
	s_add_i32 s36, s36, -2
	s_waitcnt vmcnt(0)
	ds_write2_b32 v3, v8, v9 offset1:1
	v_add_u32_e32 v3, 8, v3
	s_branch .LBB19_9
.LBB19_10:
	s_or_b64 exec, exec, s[30:31]
	s_branch .LBB19_23
.LBB19_11:
	s_mov_b64 s[28:29], 0
	s_cbranch_execz .LBB19_23
; %bb.12:
	v_mov_b32_e32 v4, 0
	v_add_u32_e32 v1, 1, v0
	v_cmp_gt_u32_e64 s[8:9], 3, v0
	v_cmp_lt_u32_e32 vcc, 2, v0
	s_and_saveexec_b64 s[28:29], vcc
	s_cbranch_execz .LBB19_19
; %bb.13:
	s_cmp_eq_u32 s20, 1
	s_cselect_b64 s[30:31], -1, 0
	s_cmp_eq_u32 s14, 1
	s_cselect_b64 s[34:35], -1, 0
	s_and_b64 s[30:31], s[30:31], s[34:35]
	s_and_b64 vcc, exec, s[30:31]
	s_cbranch_vccz .LBB19_17
; %bb.14:
	v_lshlrev_b32_e32 v5, 2, v0
	v_mov_b32_e32 v3, s15
	v_add_co_u32_e32 v2, vcc, s7, v5
	v_and_b32_e32 v4, 0x7fe, v1
	v_addc_co_u32_e32 v3, vcc, 0, v3, vcc
	s_mov_b64 s[30:31], 0
	v_mov_b32_e32 v6, v4
.LBB19_15:                              ; =>This Inner Loop Header: Depth=1
	global_load_dwordx2 v[8:9], v[2:3], off
	v_add_co_u32_e32 v2, vcc, 8, v2
	v_addc_co_u32_e32 v3, vcc, 0, v3, vcc
	v_add_u32_e32 v6, -2, v6
	v_cmp_eq_u32_e32 vcc, 0, v6
	s_or_b64 s[30:31], vcc, s[30:31]
	s_waitcnt vmcnt(0)
	ds_write2_b32 v5, v8, v9 offset1:1
	v_add_u32_e32 v5, 8, v5
	s_andn2_b64 exec, exec, s[30:31]
	s_cbranch_execnz .LBB19_15
; %bb.16:
	s_or_b64 exec, exec, s[30:31]
	v_cmp_ne_u32_e64 s[30:31], v1, v4
	s_branch .LBB19_18
.LBB19_17:
	s_mov_b64 s[30:31], -1
	v_mov_b32_e32 v4, 0
.LBB19_18:
	s_andn2_b64 s[8:9], s[8:9], exec
	s_and_b64 s[30:31], s[30:31], exec
	s_or_b64 s[8:9], s[8:9], s[30:31]
.LBB19_19:
	s_or_b64 exec, exec, s[28:29]
	s_and_saveexec_b64 s[28:29], s[8:9]
	s_cbranch_execz .LBB19_22
; %bb.20:
	v_mul_lo_u32 v2, v4, s14
	s_ashr_i32 s21, s20, 31
	v_add_lshl_u32 v5, v0, v2, 2
	s_lshl_b32 s7, s14, 2
	v_mad_i64_i32 v[2:3], s[8:9], s20, v4, 0
	s_add_u32 s8, s24, s26
	v_lshlrev_b64 v[2:3], 2, v[2:3]
	s_addc_u32 s9, s25, s27
	v_sub_u32_e32 v1, v1, v4
	v_mov_b32_e32 v4, s9
	v_add_co_u32_e32 v2, vcc, s8, v2
	v_addc_co_u32_e32 v3, vcc, v4, v3, vcc
	v_lshlrev_b32_e32 v4, 2, v0
	v_add_co_u32_e32 v2, vcc, v2, v4
	v_addc_co_u32_e32 v3, vcc, 0, v3, vcc
	v_mov_b32_e32 v4, s23
	v_add_co_u32_e32 v2, vcc, s22, v2
	s_lshl_b64 s[8:9], s[20:21], 2
	v_addc_co_u32_e32 v3, vcc, v4, v3, vcc
	s_mov_b64 s[20:21], 0
	v_mov_b32_e32 v4, s9
.LBB19_21:                              ; =>This Inner Loop Header: Depth=1
	global_load_dword v6, v[2:3], off
	v_add_co_u32_e32 v2, vcc, s8, v2
	v_add_u32_e32 v1, -1, v1
	v_addc_co_u32_e32 v3, vcc, v3, v4, vcc
	v_cmp_eq_u32_e32 vcc, 0, v1
	s_or_b64 s[20:21], vcc, s[20:21]
	s_waitcnt vmcnt(0)
	ds_write_b32 v5, v6
	v_add_u32_e32 v5, s7, v5
	s_andn2_b64 exec, exec, s[20:21]
	s_cbranch_execnz .LBB19_21
.LBB19_22:
	s_or_b64 exec, exec, s[28:29]
	s_mov_b64 s[28:29], -1
.LBB19_23:
	s_orn2_b64 s[20:21], s[28:29], exec
.LBB19_24:
	s_or_b64 exec, exec, s[18:19]
	s_and_saveexec_b64 s[8:9], s[20:21]
	s_cbranch_execz .LBB19_65
; %bb.25:
	s_waitcnt lgkmcnt(0)
	s_barrier
	s_waitcnt lgkmcnt(0)
                                        ; implicit-def: $vgpr2
	s_and_saveexec_b64 s[8:9], s[2:3]
	s_xor_b64 s[2:3], exec, s[8:9]
; %bb.26:
	v_mad_u64_u32 v[2:3], s[8:9], v0, s14, v[0:1]
; %bb.27:
	s_andn2_saveexec_b64 s[2:3], s[2:3]
	s_cbranch_execz .LBB19_33
; %bb.28:
	v_mad_u64_u32 v[2:3], s[8:9], v0, s14, v[0:1]
	s_cmpk_eq_i32 s13, 0x84
	v_lshlrev_b32_e32 v1, 2, v2
	v_mov_b32_e32 v4, 1.0
	s_cbranch_scc1 .LBB19_32
; %bb.29:
	ds_read_b32 v3, v1
	v_mov_b32_e32 v4, 1.0
	s_waitcnt lgkmcnt(0)
	v_cmp_neq_f32_e32 vcc, 0, v3
	s_and_saveexec_b64 s[8:9], vcc
; %bb.30:
	v_div_scale_f32 v4, s[18:19], v3, v3, 1.0
	v_rcp_f32_e32 v5, v4
	v_div_scale_f32 v6, vcc, 1.0, v3, 1.0
	v_fma_f32 v7, -v4, v5, 1.0
	v_fmac_f32_e32 v5, v7, v5
	v_mul_f32_e32 v7, v6, v5
	v_fma_f32 v8, -v4, v7, v6
	v_fmac_f32_e32 v7, v8, v5
	v_fma_f32 v4, -v4, v7, v6
	v_div_fmas_f32 v4, v4, v5, v7
	v_div_fixup_f32 v4, v4, v3, 1.0
; %bb.31:
	s_or_b64 exec, exec, s[8:9]
.LBB19_32:
	ds_write_b32 v1, v4
.LBB19_33:
	s_or_b64 exec, exec, s[2:3]
	s_lshl_b32 s15, s14, 2
	v_lshlrev_b32_e32 v1, 2, v2
	s_mov_b32 s7, 4
	s_add_i32 s8, s15, 4
	v_add_lshl_u32 v2, v0, s14, 2
	s_mov_b32 s9, 0
	s_waitcnt lgkmcnt(0)
	s_barrier
	s_branch .LBB19_35
.LBB19_34:                              ;   in Loop: Header=BB19_35 Depth=1
	s_add_i32 s7, s7, s8
	s_cmp_eq_u32 s9, s14
	v_add_u32_e32 v2, s15, v2
	s_barrier
	s_cbranch_scc1 .LBB19_44
.LBB19_35:                              ; =>This Loop Header: Depth=1
                                        ;     Child Loop BB19_40 Depth 2
	s_mul_i32 s13, s9, s14
	v_cmp_lt_u32_e32 vcc, s9, v0
	v_add_lshl_u32 v3, s13, v0, 2
	v_mov_b32_e32 v4, 0
	s_and_saveexec_b64 s[2:3], vcc
	s_cbranch_execz .LBB19_37
; %bb.36:                               ;   in Loop: Header=BB19_35 Depth=1
	s_add_i32 s13, s13, s9
	s_lshl_b32 s13, s13, 2
	v_mov_b32_e32 v4, s13
	ds_read_b32 v5, v3
	ds_read_b32 v4, v4
	s_waitcnt lgkmcnt(0)
	v_fma_f32 v4, v5, v4, 0
.LBB19_37:                              ;   in Loop: Header=BB19_35 Depth=1
	s_or_b64 exec, exec, s[2:3]
	s_add_i32 s9, s9, 1
	s_cmp_ge_i32 s9, s14
	s_barrier
	s_cbranch_scc1 .LBB19_34
; %bb.38:                               ;   in Loop: Header=BB19_35 Depth=1
	v_mov_b32_e32 v5, v2
	s_mov_b32 s13, s7
	s_mov_b32 s18, s9
	s_branch .LBB19_40
.LBB19_39:                              ;   in Loop: Header=BB19_40 Depth=2
	s_or_b64 exec, exec, s[2:3]
	s_add_i32 s18, s18, 1
	s_add_i32 s13, s13, 4
	s_cmp_ge_i32 s18, s14
	v_add_u32_e32 v5, s15, v5
	s_barrier
	s_cbranch_scc1 .LBB19_34
.LBB19_40:                              ;   Parent Loop BB19_35 Depth=1
                                        ; =>  This Inner Loop Header: Depth=2
	v_cmp_eq_u32_e32 vcc, s18, v0
	s_and_saveexec_b64 s[2:3], vcc
	s_cbranch_execz .LBB19_42
; %bb.41:                               ;   in Loop: Header=BB19_40 Depth=2
	ds_read_b32 v6, v1
	s_waitcnt lgkmcnt(0)
	v_mul_f32_e64 v6, -v4, v6
	ds_write_b32 v3, v6
.LBB19_42:                              ;   in Loop: Header=BB19_40 Depth=2
	s_or_b64 exec, exec, s[2:3]
	v_cmp_lt_u32_e32 vcc, s18, v0
	s_waitcnt lgkmcnt(0)
	s_barrier
	s_and_saveexec_b64 s[2:3], vcc
	s_cbranch_execz .LBB19_39
; %bb.43:                               ;   in Loop: Header=BB19_40 Depth=2
	v_mov_b32_e32 v7, s13
	ds_read_b32 v6, v5
	ds_read_b32 v7, v7
	s_waitcnt lgkmcnt(0)
	v_fmac_f32_e32 v4, v6, v7
	s_branch .LBB19_39
.LBB19_44:
	s_and_b64 exec, exec, s[0:1]
	s_cbranch_execz .LBB19_65
; %bb.45:
	s_load_dwordx2 s[0:1], s[4:5], 0x58
	s_load_dword s8, s[4:5], 0x48
	s_lshl_b64 s[4:5], s[16:17], 2
	s_add_u32 s2, s10, s4
	s_addc_u32 s3, s11, s5
	s_waitcnt lgkmcnt(0)
	s_mul_i32 s1, s6, s1
	s_mul_hi_u32 s7, s6, s0
	s_add_i32 s1, s7, s1
	s_mul_i32 s0, s6, s0
	s_lshl_b64 s[6:7], s[0:1], 2
	s_add_u32 s16, s2, s6
	s_addc_u32 s17, s3, s7
	s_cmpk_lg_i32 s12, 0x7a
	s_mov_b64 s[0:1], -1
	s_cbranch_scc0 .LBB19_54
; %bb.46:
	s_add_i32 s2, s14, -1
	s_ashr_i32 s9, s8, 31
	v_min_i32_e32 v1, s2, v0
	v_sub_u32_e32 v1, s14, v1
	s_cmp_lg_u32 s14, 1
	v_cmp_gt_u32_e32 vcc, 2, v1
	s_cselect_b64 s[0:1], -1, 0
	s_or_b64 s[0:1], vcc, s[0:1]
	s_and_saveexec_b64 s[12:13], s[0:1]
	s_xor_b64 s[0:1], exec, s[12:13]
	s_cbranch_execz .LBB19_50
; %bb.47:
	s_mul_i32 s3, s9, s2
	s_mul_hi_u32 s12, s8, s2
	s_add_i32 s3, s12, s3
	s_mul_i32 s2, s8, s2
	s_lshl_b64 s[2:3], s[2:3], 2
	s_add_u32 s2, s6, s2
	s_addc_u32 s3, s7, s3
	s_add_u32 s2, s2, s4
	s_addc_u32 s3, s3, s5
	s_add_u32 s2, s10, s2
	s_addc_u32 s3, s11, s3
	s_lshl_b64 s[12:13], s[8:9], 2
	v_lshlrev_b32_e32 v1, 2, v0
	s_sub_u32 s12, 0, s12
	v_mov_b32_e32 v3, s3
	v_add_co_u32_e32 v2, vcc, s2, v1
	s_subb_u32 s13, 0, s13
	v_sub_u32_e32 v1, s15, v1
	v_addc_co_u32_e32 v3, vcc, 0, v3, vcc
	s_mov_b64 s[2:3], 0
	v_add_u32_e32 v1, -4, v1
	v_mov_b32_e32 v4, s13
	s_mov_b32 s13, s14
.LBB19_48:                              ; =>This Inner Loop Header: Depth=1
	ds_read_b32 v5, v1
	s_add_i32 s13, s13, -1
	v_cmp_le_i32_e32 vcc, s13, v0
	s_or_b64 s[2:3], vcc, s[2:3]
	v_add_u32_e32 v1, s15, v1
	s_waitcnt lgkmcnt(0)
	global_store_dword v[2:3], v5, off
	v_add_co_u32_e32 v2, vcc, s12, v2
	v_addc_co_u32_e32 v3, vcc, v3, v4, vcc
	s_andn2_b64 exec, exec, s[2:3]
	s_cbranch_execnz .LBB19_48
; %bb.49:
	s_or_b64 exec, exec, s[2:3]
.LBB19_50:
	s_andn2_saveexec_b64 s[12:13], s[0:1]
	s_cbranch_execz .LBB19_53
; %bb.51:
	v_lshlrev_b32_e32 v3, 2, v0
	v_mov_b32_e32 v2, s17
	v_add_co_u32_e32 v1, vcc, s16, v3
	v_addc_co_u32_e32 v2, vcc, 0, v2, vcc
	s_mov_b32 s18, s8
	s_mov_b32 s19, s9
	;; [unrolled: 1-line block ×3, first 2 shown]
	v_sub_u32_e32 v3, 0, v3
	s_mov_b32 s21, -1
	s_and_b64 vcc, exec, 0
.LBB19_52:                              ; =>This Inner Loop Header: Depth=1
	ds_read2_b32 v[4:5], v3 offset1:1
	s_mul_i32 s1, s19, s21
	s_mul_hi_u32 s3, s18, s21
	s_mul_i32 s22, s9, s20
	s_mul_hi_u32 s23, s8, s20
	s_mul_i32 s2, s8, s20
	s_add_i32 s1, s3, s1
	s_add_i32 s3, s23, s22
	s_mul_i32 s0, s18, s21
	s_lshl_b64 s[2:3], s[2:3], 2
	s_lshl_b64 s[0:1], s[0:1], 2
	v_mov_b32_e32 v7, s3
	v_add_co_u32_e64 v8, s[2:3], s2, v1
	s_add_i32 s20, s20, -2
	s_add_i32 s21, s21, -2
	v_add_u32_e32 v3, 8, v3
	v_mov_b32_e32 v10, s1
	v_add_co_u32_e64 v6, s[0:1], s0, v1
	v_addc_co_u32_e64 v9, s[2:3], v2, v7, s[2:3]
	v_addc_co_u32_e64 v7, s[0:1], v2, v10, s[0:1]
	s_waitcnt lgkmcnt(0)
	global_store_dword v[8:9], v4, off
	global_store_dword v[6:7], v5, off
	s_mov_b64 vcc, vcc
	s_cbranch_vccz .LBB19_52
.LBB19_53:
	s_or_b64 exec, exec, s[12:13]
	s_mov_b64 s[0:1], 0
.LBB19_54:
	s_andn2_b64 vcc, exec, s[0:1]
	s_cbranch_vccnz .LBB19_65
; %bb.55:
	v_mov_b32_e32 v1, 0
	v_add_u32_e32 v4, 1, v0
	v_cmp_gt_u32_e64 s[0:1], 3, v0
	v_cmp_lt_u32_e32 vcc, 2, v0
	s_and_saveexec_b64 s[2:3], vcc
	s_cbranch_execz .LBB19_62
; %bb.56:
	s_cmp_eq_u32 s14, 1
	s_cselect_b64 s[12:13], -1, 0
	s_cmp_eq_u32 s8, 1
	s_cselect_b64 s[18:19], -1, 0
	s_and_b64 s[12:13], s[12:13], s[18:19]
	s_and_b64 vcc, exec, s[12:13]
	s_cbranch_vccz .LBB19_60
; %bb.57:
	v_lshlrev_b32_e32 v5, 2, v0
	v_mov_b32_e32 v1, s17
	v_add_co_u32_e32 v2, vcc, s16, v5
	v_addc_co_u32_e32 v3, vcc, 0, v1, vcc
	v_and_b32_e32 v1, 0x7fe, v4
	s_mov_b64 s[12:13], 0
	v_mov_b32_e32 v6, v1
.LBB19_58:                              ; =>This Inner Loop Header: Depth=1
	ds_read2_b32 v[8:9], v5 offset1:1
	v_add_u32_e32 v6, -2, v6
	v_cmp_eq_u32_e32 vcc, 0, v6
	s_or_b64 s[12:13], vcc, s[12:13]
	v_add_u32_e32 v5, 8, v5
	s_waitcnt lgkmcnt(0)
	global_store_dwordx2 v[2:3], v[8:9], off
	v_add_co_u32_e32 v2, vcc, 8, v2
	v_addc_co_u32_e32 v3, vcc, 0, v3, vcc
	s_andn2_b64 exec, exec, s[12:13]
	s_cbranch_execnz .LBB19_58
; %bb.59:
	s_or_b64 exec, exec, s[12:13]
	v_cmp_ne_u32_e64 s[12:13], v4, v1
	s_branch .LBB19_61
.LBB19_60:
	s_mov_b64 s[12:13], -1
	v_mov_b32_e32 v1, 0
.LBB19_61:
	s_andn2_b64 s[0:1], s[0:1], exec
	s_and_b64 s[12:13], s[12:13], exec
	s_or_b64 s[0:1], s[0:1], s[12:13]
.LBB19_62:
	s_or_b64 exec, exec, s[2:3]
	s_and_b64 exec, exec, s[0:1]
	s_cbranch_execz .LBB19_65
; %bb.63:
	s_ashr_i32 s9, s8, 31
	v_mad_i64_i32 v[2:3], s[0:1], s8, v1, 0
	s_add_u32 s0, s4, s6
	v_lshlrev_b64 v[2:3], 2, v[2:3]
	s_addc_u32 s1, s5, s7
	v_mov_b32_e32 v5, s1
	v_add_co_u32_e32 v2, vcc, s0, v2
	v_addc_co_u32_e32 v3, vcc, v5, v3, vcc
	v_lshlrev_b32_e32 v5, 2, v0
	v_add_co_u32_e32 v2, vcc, v2, v5
	v_addc_co_u32_e32 v3, vcc, 0, v3, vcc
	v_sub_u32_e32 v4, v4, v1
	v_mov_b32_e32 v5, s11
	v_add_co_u32_e32 v2, vcc, s10, v2
	s_lshl_b64 s[0:1], s[8:9], 2
	v_mul_lo_u32 v1, v1, s14
	v_addc_co_u32_e32 v3, vcc, v5, v3, vcc
	v_add_lshl_u32 v0, v0, v1, 2
	s_mov_b64 s[2:3], 0
	v_mov_b32_e32 v1, s1
.LBB19_64:                              ; =>This Inner Loop Header: Depth=1
	ds_read_b32 v5, v0
	v_add_u32_e32 v4, -1, v4
	v_cmp_eq_u32_e32 vcc, 0, v4
	s_or_b64 s[2:3], vcc, s[2:3]
	v_add_u32_e32 v0, s15, v0
	s_waitcnt lgkmcnt(0)
	global_store_dword v[2:3], v5, off
	v_add_co_u32_e32 v2, vcc, s0, v2
	v_addc_co_u32_e32 v3, vcc, v3, v1, vcc
	s_andn2_b64 exec, exec, s[2:3]
	s_cbranch_execnz .LBB19_64
.LBB19_65:
	s_endpgm
	.section	.rodata,"a",@progbits
	.p2align	6, 0x0
	.amdhsa_kernel _ZL30rocblas_trtri_remainder_kernelILi16EfPKPKfPKPfEv13rocblas_fill_17rocblas_diagonal_iT1_lillT2_lilli
		.amdhsa_group_segment_fixed_size 4096
		.amdhsa_private_segment_fixed_size 0
		.amdhsa_kernarg_size 100
		.amdhsa_user_sgpr_count 6
		.amdhsa_user_sgpr_private_segment_buffer 1
		.amdhsa_user_sgpr_dispatch_ptr 0
		.amdhsa_user_sgpr_queue_ptr 0
		.amdhsa_user_sgpr_kernarg_segment_ptr 1
		.amdhsa_user_sgpr_dispatch_id 0
		.amdhsa_user_sgpr_flat_scratch_init 0
		.amdhsa_user_sgpr_kernarg_preload_length 0
		.amdhsa_user_sgpr_kernarg_preload_offset 0
		.amdhsa_user_sgpr_private_segment_size 0
		.amdhsa_uses_dynamic_stack 0
		.amdhsa_system_sgpr_private_segment_wavefront_offset 0
		.amdhsa_system_sgpr_workgroup_id_x 1
		.amdhsa_system_sgpr_workgroup_id_y 0
		.amdhsa_system_sgpr_workgroup_id_z 1
		.amdhsa_system_sgpr_workgroup_info 0
		.amdhsa_system_vgpr_workitem_id 0
		.amdhsa_next_free_vgpr 11
		.amdhsa_next_free_sgpr 43
		.amdhsa_accum_offset 12
		.amdhsa_reserve_vcc 1
		.amdhsa_reserve_flat_scratch 0
		.amdhsa_float_round_mode_32 0
		.amdhsa_float_round_mode_16_64 0
		.amdhsa_float_denorm_mode_32 3
		.amdhsa_float_denorm_mode_16_64 3
		.amdhsa_dx10_clamp 1
		.amdhsa_ieee_mode 1
		.amdhsa_fp16_overflow 0
		.amdhsa_tg_split 0
		.amdhsa_exception_fp_ieee_invalid_op 0
		.amdhsa_exception_fp_denorm_src 0
		.amdhsa_exception_fp_ieee_div_zero 0
		.amdhsa_exception_fp_ieee_overflow 0
		.amdhsa_exception_fp_ieee_underflow 0
		.amdhsa_exception_fp_ieee_inexact 0
		.amdhsa_exception_int_div_zero 0
	.end_amdhsa_kernel
	.section	.text._ZL30rocblas_trtri_remainder_kernelILi16EfPKPKfPKPfEv13rocblas_fill_17rocblas_diagonal_iT1_lillT2_lilli,"axG",@progbits,_ZL30rocblas_trtri_remainder_kernelILi16EfPKPKfPKPfEv13rocblas_fill_17rocblas_diagonal_iT1_lillT2_lilli,comdat
.Lfunc_end19:
	.size	_ZL30rocblas_trtri_remainder_kernelILi16EfPKPKfPKPfEv13rocblas_fill_17rocblas_diagonal_iT1_lillT2_lilli, .Lfunc_end19-_ZL30rocblas_trtri_remainder_kernelILi16EfPKPKfPKPfEv13rocblas_fill_17rocblas_diagonal_iT1_lillT2_lilli
                                        ; -- End function
	.section	.AMDGPU.csdata,"",@progbits
; Kernel info:
; codeLenInByte = 2236
; NumSgprs: 47
; NumVgprs: 11
; NumAgprs: 0
; TotalNumVgprs: 11
; ScratchSize: 0
; MemoryBound: 0
; FloatMode: 240
; IeeeMode: 1
; LDSByteSize: 4096 bytes/workgroup (compile time only)
; SGPRBlocks: 5
; VGPRBlocks: 1
; NumSGPRsForWavesPerEU: 47
; NumVGPRsForWavesPerEU: 11
; AccumOffset: 12
; Occupancy: 8
; WaveLimiterHint : 1
; COMPUTE_PGM_RSRC2:SCRATCH_EN: 0
; COMPUTE_PGM_RSRC2:USER_SGPR: 6
; COMPUTE_PGM_RSRC2:TRAP_HANDLER: 0
; COMPUTE_PGM_RSRC2:TGID_X_EN: 1
; COMPUTE_PGM_RSRC2:TGID_Y_EN: 0
; COMPUTE_PGM_RSRC2:TGID_Z_EN: 1
; COMPUTE_PGM_RSRC2:TIDIG_COMP_CNT: 0
; COMPUTE_PGM_RSRC3_GFX90A:ACCUM_OFFSET: 2
; COMPUTE_PGM_RSRC3_GFX90A:TG_SPLIT: 0
	.section	.text._ZL18rocblas_trtri_fillILi128EdPKPdEvP15_rocblas_handle13rocblas_fill_ililT1_llii,"axG",@progbits,_ZL18rocblas_trtri_fillILi128EdPKPdEvP15_rocblas_handle13rocblas_fill_ililT1_llii,comdat
	.globl	_ZL18rocblas_trtri_fillILi128EdPKPdEvP15_rocblas_handle13rocblas_fill_ililT1_llii ; -- Begin function _ZL18rocblas_trtri_fillILi128EdPKPdEvP15_rocblas_handle13rocblas_fill_ililT1_llii
	.p2align	8
	.type	_ZL18rocblas_trtri_fillILi128EdPKPdEvP15_rocblas_handle13rocblas_fill_ililT1_llii,@function
_ZL18rocblas_trtri_fillILi128EdPKPdEvP15_rocblas_handle13rocblas_fill_ililT1_llii: ; @_ZL18rocblas_trtri_fillILi128EdPKPdEvP15_rocblas_handle13rocblas_fill_ililT1_llii
; %bb.0:
	s_load_dword s1, s[4:5], 0x40
	s_load_dwordx2 s[2:3], s[4:5], 0x10
	s_mov_b32 s0, s7
	s_waitcnt lgkmcnt(0)
	s_ashr_i32 s7, s1, 31
	s_mul_i32 s8, s1, s3
	s_mul_hi_u32 s9, s1, s2
	s_add_i32 s8, s9, s8
	s_mul_i32 s7, s7, s2
	s_add_i32 s13, s8, s7
	s_mov_b32 s7, 0
	s_lshl_b64 s[8:9], s[6:7], 7
	s_mul_i32 s12, s1, s2
	v_or_b32_e32 v0, s8, v0
	v_mov_b32_e32 v1, s9
	v_cmp_gt_u64_e32 vcc, s[12:13], v[0:1]
	s_and_saveexec_b64 s[8:9], vcc
	s_cbranch_execz .LBB20_16
; %bb.1:
	s_load_dword s6, s[4:5], 0x18
	s_load_dwordx4 s[8:11], s[4:5], 0x20
	s_load_dwordx2 s[14:15], s[4:5], 0x30
	s_mov_b32 s1, s7
	s_lshl_b64 s[0:1], s[0:1], 3
	s_waitcnt lgkmcnt(0)
	s_ashr_i32 s7, s6, 31
	s_add_u32 s0, s10, s0
	s_addc_u32 s1, s11, s1
	s_load_dwordx2 s[16:17], s[0:1], 0x0
	s_load_dwordx2 s[10:11], s[4:5], 0x8
	s_lshl_b64 s[0:1], s[14:15], 3
	v_cvt_f32_u32_e32 v4, s2
	v_cvt_f32_u32_e32 v5, s3
	s_waitcnt lgkmcnt(0)
	s_add_u32 s20, s16, s0
	s_addc_u32 s21, s17, s1
	s_add_i32 s0, s11, -2
	v_cvt_f64_i32_e32 v[2:3], s0
	s_add_i32 s0, s11, -1
	s_mul_hi_i32 s1, s0, s11
	s_mul_i32 s0, s0, s11
	s_ashr_i32 s22, s11, 31
	s_lshl_b64 s[14:15], s[0:1], 2
	s_mov_b32 s23, s11
	s_add_u32 s11, s14, -7
	s_load_dword s14, s[4:5], 0x48
	s_load_dword s16, s[4:5], 0x54
	v_madmk_f32 v4, v5, 0x4f800000, v4
	v_rcp_f32_e32 v5, v4
	v_cvt_f32_u32_e32 v7, s2
	s_addc_u32 s24, s15, -1
	s_lshr_b64 s[4:5], s[0:1], 1
	v_mul_f32_e32 v5, 0x5f7ffffc, v5
	v_mul_f32_e32 v6, 0x2f800000, v5
	v_trunc_f32_e32 v6, v6
	v_madmk_f32 v5, v6, 0xcf800000, v5
	v_cvt_u32_f32_e32 v12, v5
	v_rcp_iflag_f32_e32 v5, v7
	v_cvt_u32_f32_e32 v13, v6
	s_waitcnt lgkmcnt(0)
	s_and_b32 s0, s16, 0xffff
	s_mov_b32 s16, 0
	v_mul_f32_e32 v5, 0x4f7ffffe, v5
	v_cvt_u32_f32_e32 v14, v5
	s_mul_hi_u32 s25, s0, s14
	s_mul_i32 s26, s0, s14
	s_mov_b64 s[14:15], 0
	v_mov_b32_e32 v4, 0
	s_brev_b32 s17, 8
	v_mov_b32_e32 v15, 0x260
	s_movk_i32 s27, 0xffe0
	v_mov_b32_e32 v16, 0xffffff80
	s_branch .LBB20_3
.LBB20_2:                               ;   in Loop: Header=BB20_3 Depth=1
	v_mov_b32_e32 v5, s25
	v_add_co_u32_e32 v0, vcc, s26, v0
	v_addc_co_u32_e32 v1, vcc, v1, v5, vcc
	v_cmp_le_u64_e32 vcc, s[12:13], v[0:1]
	s_or_b64 s[14:15], vcc, s[14:15]
	s_andn2_b64 exec, exec, s[14:15]
	s_cbranch_execz .LBB20_16
.LBB20_3:                               ; =>This Inner Loop Header: Depth=1
	v_or_b32_e32 v5, s3, v1
	v_cmp_ne_u64_e32 vcc, 0, v[4:5]
                                        ; implicit-def: $vgpr6_vgpr7
	s_and_saveexec_b64 s[0:1], vcc
	s_xor_b64 s[18:19], exec, s[0:1]
	s_cbranch_execz .LBB20_5
; %bb.4:                                ;   in Loop: Header=BB20_3 Depth=1
	s_sub_u32 s0, 0, s2
	s_subb_u32 s1, 0, s3
	v_mul_hi_u32 v6, s0, v12
	v_mul_lo_u32 v7, s0, v13
	v_mul_lo_u32 v5, s1, v12
	v_add_u32_e32 v6, v6, v7
	v_add_u32_e32 v5, v6, v5
	v_mul_lo_u32 v8, s0, v12
	v_mul_lo_u32 v7, v12, v5
	v_mul_hi_u32 v9, v12, v8
	v_mul_hi_u32 v6, v12, v5
	v_add_co_u32_e32 v7, vcc, v9, v7
	v_addc_co_u32_e32 v6, vcc, 0, v6, vcc
	v_mul_hi_u32 v10, v13, v8
	v_mul_lo_u32 v8, v13, v8
	v_add_co_u32_e32 v7, vcc, v7, v8
	v_mul_hi_u32 v9, v13, v5
	v_addc_co_u32_e32 v6, vcc, v6, v10, vcc
	v_addc_co_u32_e32 v7, vcc, 0, v9, vcc
	v_mul_lo_u32 v5, v13, v5
	v_add_co_u32_e32 v5, vcc, v6, v5
	v_addc_co_u32_e32 v6, vcc, 0, v7, vcc
	v_add_co_u32_e32 v5, vcc, v12, v5
	v_addc_co_u32_e32 v6, vcc, v13, v6, vcc
	v_mul_lo_u32 v7, s0, v6
	v_mul_hi_u32 v8, s0, v5
	v_add_u32_e32 v7, v8, v7
	v_mul_lo_u32 v8, s1, v5
	v_add_u32_e32 v7, v7, v8
	v_mul_lo_u32 v9, s0, v5
	v_mul_hi_u32 v10, v6, v9
	v_mul_lo_u32 v11, v6, v9
	v_mul_lo_u32 v18, v5, v7
	v_mul_hi_u32 v9, v5, v9
	v_mul_hi_u32 v17, v5, v7
	v_add_co_u32_e32 v9, vcc, v9, v18
	v_addc_co_u32_e32 v17, vcc, 0, v17, vcc
	v_add_co_u32_e32 v9, vcc, v9, v11
	v_mul_hi_u32 v8, v6, v7
	v_addc_co_u32_e32 v9, vcc, v17, v10, vcc
	v_addc_co_u32_e32 v8, vcc, 0, v8, vcc
	v_mul_lo_u32 v7, v6, v7
	v_add_co_u32_e32 v7, vcc, v9, v7
	v_addc_co_u32_e32 v8, vcc, 0, v8, vcc
	v_add_co_u32_e32 v5, vcc, v5, v7
	v_addc_co_u32_e32 v8, vcc, v6, v8, vcc
	v_mad_u64_u32 v[6:7], s[0:1], v0, v8, 0
	v_mul_hi_u32 v9, v0, v5
	v_add_co_u32_e32 v10, vcc, v9, v6
	v_addc_co_u32_e32 v11, vcc, 0, v7, vcc
	v_mad_u64_u32 v[6:7], s[0:1], v1, v8, 0
	v_mad_u64_u32 v[8:9], s[0:1], v1, v5, 0
	v_add_co_u32_e32 v5, vcc, v10, v8
	v_addc_co_u32_e32 v5, vcc, v11, v9, vcc
	v_addc_co_u32_e32 v7, vcc, 0, v7, vcc
	v_add_co_u32_e32 v5, vcc, v5, v6
	v_addc_co_u32_e32 v8, vcc, 0, v7, vcc
	v_mul_lo_u32 v9, s3, v5
	v_mul_lo_u32 v10, s2, v8
	v_mad_u64_u32 v[6:7], s[0:1], s2, v5, 0
	v_add3_u32 v7, v7, v10, v9
	v_sub_u32_e32 v9, v1, v7
	v_mov_b32_e32 v10, s3
	v_sub_co_u32_e32 v6, vcc, v0, v6
	v_subb_co_u32_e64 v9, s[0:1], v9, v10, vcc
	v_subrev_co_u32_e64 v10, s[0:1], s2, v6
	v_subbrev_co_u32_e64 v9, s[0:1], 0, v9, s[0:1]
	v_cmp_le_u32_e64 s[0:1], s3, v9
	v_cndmask_b32_e64 v11, 0, -1, s[0:1]
	v_cmp_le_u32_e64 s[0:1], s2, v10
	v_cndmask_b32_e64 v10, 0, -1, s[0:1]
	v_cmp_eq_u32_e64 s[0:1], s3, v9
	v_cndmask_b32_e64 v9, v11, v10, s[0:1]
	v_add_co_u32_e64 v10, s[0:1], 2, v5
	v_addc_co_u32_e64 v11, s[0:1], 0, v8, s[0:1]
	v_add_co_u32_e64 v17, s[0:1], 1, v5
	v_addc_co_u32_e64 v18, s[0:1], 0, v8, s[0:1]
	v_subb_co_u32_e32 v7, vcc, v1, v7, vcc
	v_cmp_ne_u32_e64 s[0:1], 0, v9
	v_cmp_le_u32_e32 vcc, s3, v7
	v_cndmask_b32_e64 v9, v18, v11, s[0:1]
	v_cndmask_b32_e64 v11, 0, -1, vcc
	v_cmp_le_u32_e32 vcc, s2, v6
	v_cndmask_b32_e64 v6, 0, -1, vcc
	v_cmp_eq_u32_e32 vcc, s3, v7
	v_cndmask_b32_e32 v6, v11, v6, vcc
	v_cmp_ne_u32_e32 vcc, 0, v6
	v_cndmask_b32_e64 v6, v17, v10, s[0:1]
	v_cndmask_b32_e32 v7, v8, v9, vcc
	v_cndmask_b32_e32 v6, v5, v6, vcc
.LBB20_5:                               ;   in Loop: Header=BB20_3 Depth=1
	s_andn2_saveexec_b64 s[0:1], s[18:19]
	s_cbranch_execz .LBB20_7
; %bb.6:                                ;   in Loop: Header=BB20_3 Depth=1
	s_sub_i32 s18, 0, s2
	v_mul_lo_u32 v5, s18, v14
	v_mul_hi_u32 v5, v14, v5
	v_add_u32_e32 v5, v14, v5
	v_mul_hi_u32 v5, v0, v5
	v_mul_lo_u32 v6, v5, s2
	v_sub_u32_e32 v6, v0, v6
	v_subrev_u32_e32 v7, s2, v6
	v_cmp_le_u32_e32 vcc, s2, v6
	v_cndmask_b32_e32 v6, v6, v7, vcc
	v_add_u32_e32 v7, 1, v5
	v_cndmask_b32_e32 v5, v5, v7, vcc
	v_add_u32_e32 v7, 1, v5
	v_cmp_le_u32_e32 vcc, s2, v6
	v_cndmask_b32_e32 v6, v5, v7, vcc
	v_mov_b32_e32 v7, v4
.LBB20_7:                               ;   in Loop: Header=BB20_3 Depth=1
	s_or_b64 exec, exec, s[0:1]
	v_mul_lo_u32 v5, v7, s2
	v_mul_lo_u32 v10, v6, s3
	v_mad_u64_u32 v[8:9], s[0:1], v6, s2, 0
	v_add3_u32 v5, v9, v10, v5
	v_sub_co_u32_e32 v8, vcc, v0, v8
	s_cmpk_lt_i32 s10, 0x7a
	v_subb_co_u32_e32 v9, vcc, v1, v5, vcc
	s_cbranch_scc1 .LBB20_10
; %bb.8:                                ;   in Loop: Header=BB20_3 Depth=1
	s_mov_b64 s[0:1], 0
	s_cmpk_eq_i32 s10, 0x7a
	s_mov_b64 s[18:19], 0
                                        ; implicit-def: $vgpr10_vgpr11
	s_cbranch_scc0 .LBB20_11
; %bb.9:                                ;   in Loop: Header=BB20_3 Depth=1
	v_lshlrev_b64 v[10:11], 3, v[8:9]
	v_mov_b32_e32 v5, s24
	v_sub_co_u32_e32 v17, vcc, s11, v10
	v_subb_co_u32_e32 v5, vcc, v5, v11, vcc
	v_cvt_f64_u32_e32 v[10:11], v5
	v_ldexp_f64 v[10:11], v[10:11], 32
	v_cvt_f64_u32_e32 v[18:19], v17
	v_add_f64 v[10:11], v[10:11], v[18:19]
	v_cmp_gt_f64_e32 vcc, s[16:17], v[10:11]
	v_cndmask_b32_e64 v5, 0, 1, vcc
	v_lshlrev_b32_e32 v5, 8, v5
	v_ldexp_f64 v[10:11], v[10:11], v5
	v_rsq_f64_e32 v[18:19], v[10:11]
	v_cndmask_b32_e32 v5, 0, v16, vcc
	v_cmp_class_f64_e32 vcc, v[10:11], v15
	v_mul_f64 v[20:21], v[10:11], v[18:19]
	v_mul_f64 v[18:19], v[18:19], 0.5
	v_fma_f64 v[22:23], -v[18:19], v[20:21], 0.5
	v_fmac_f64_e32 v[20:21], v[20:21], v[22:23]
	v_fma_f64 v[24:25], -v[20:21], v[20:21], v[10:11]
	v_fmac_f64_e32 v[18:19], v[18:19], v[22:23]
	v_fmac_f64_e32 v[20:21], v[24:25], v[18:19]
	v_fma_f64 v[22:23], -v[20:21], v[20:21], v[10:11]
	v_fmac_f64_e32 v[20:21], v[22:23], v[18:19]
	v_ldexp_f64 v[18:19], v[20:21], v5
	v_cndmask_b32_e32 v11, v19, v11, vcc
	v_cndmask_b32_e32 v10, v18, v10, vcc
	v_fma_f64 v[10:11], v[10:11], 0.5, -0.5
	v_floor_f64_e32 v[10:11], v[10:11]
	v_add_f64 v[10:11], v[2:3], -v[10:11]
	v_trunc_f64_e32 v[10:11], v[10:11]
	v_ldexp_f64 v[18:19], v[10:11], s27
	v_floor_f64_e32 v[18:19], v[18:19]
	v_fmac_f64_e32 v[10:11], 0xc1f00000, v[18:19]
	v_cvt_u32_f64_e32 v10, v[10:11]
	v_cvt_u32_f64_e32 v11, v[18:19]
	v_mov_b32_e32 v5, s5
	v_subrev_co_u32_e32 v18, vcc, s4, v8
	v_subb_co_u32_e32 v19, vcc, v9, v5, vcc
	v_mov_b32_e32 v5, s22
	v_sub_co_u32_e32 v17, vcc, s23, v10
	v_subb_co_u32_e32 v5, vcc, v5, v11, vcc
	v_add_co_u32_e32 v20, vcc, -1, v17
	v_addc_co_u32_e32 v21, vcc, -1, v5, vcc
	v_mul_lo_u32 v22, v21, v17
	v_mul_lo_u32 v5, v20, v5
	v_mad_u64_u32 v[20:21], s[18:19], v20, v17, 0
	v_add3_u32 v21, v21, v5, v22
	v_mul_lo_u32 v5, v7, s8
	v_mul_lo_u32 v17, v6, s9
	v_mad_u64_u32 v[22:23], s[18:19], v6, s8, 0
	v_add3_u32 v23, v23, v17, v5
	v_mul_lo_u32 v5, v10, s7
	v_mad_u64_u32 v[24:25], s[18:19], v10, s6, 0
	v_mul_lo_u32 v17, v11, s6
	v_lshlrev_b64 v[22:23], 3, v[22:23]
	v_add3_u32 v25, v25, v5, v17
	v_mov_b32_e32 v5, s21
	v_add_co_u32_e32 v17, vcc, s20, v22
	v_addc_co_u32_e32 v5, vcc, v5, v23, vcc
	v_lshlrev_b64 v[22:23], 3, v[24:25]
	v_add_co_u32_e32 v17, vcc, v17, v22
	v_addc_co_u32_e32 v5, vcc, v5, v23, vcc
	v_lshlrev_b64 v[18:19], 3, v[18:19]
	;; [unrolled: 3-line block ×4, first 2 shown]
	v_and_b32_e32 v10, -8, v10
	v_add_co_u32_e32 v10, vcc, v17, v10
	v_addc_co_u32_e32 v5, vcc, v5, v11, vcc
	v_add_co_u32_e32 v10, vcc, 8, v10
	v_addc_co_u32_e32 v11, vcc, 0, v5, vcc
	s_mov_b64 s[18:19], -1
	s_branch .LBB20_11
.LBB20_10:                              ;   in Loop: Header=BB20_3 Depth=1
	s_mov_b64 s[0:1], -1
	s_mov_b64 s[18:19], 0
                                        ; implicit-def: $vgpr10_vgpr11
.LBB20_11:                              ;   in Loop: Header=BB20_3 Depth=1
	s_and_b64 vcc, exec, s[0:1]
	s_cbranch_vccz .LBB20_14
; %bb.12:                               ;   in Loop: Header=BB20_3 Depth=1
	s_cmpk_eq_i32 s10, 0x79
                                        ; implicit-def: $vgpr10_vgpr11
	s_cbranch_scc0 .LBB20_14
; %bb.13:                               ;   in Loop: Header=BB20_3 Depth=1
	v_lshlrev_b64 v[10:11], 3, v[8:9]
	v_or_b32_e32 v5, 1, v10
	v_cvt_f64_u32_e32 v[10:11], v11
	v_ldexp_f64 v[10:11], v[10:11], 32
	v_cvt_f64_u32_e32 v[18:19], v5
	v_add_f64 v[10:11], v[10:11], v[18:19]
	v_cmp_gt_f64_e32 vcc, s[16:17], v[10:11]
	v_cndmask_b32_e64 v5, 0, 1, vcc
	v_lshlrev_b32_e32 v5, 8, v5
	v_ldexp_f64 v[10:11], v[10:11], v5
	v_rsq_f64_e32 v[18:19], v[10:11]
	v_cndmask_b32_e32 v5, 0, v16, vcc
	v_cmp_class_f64_e32 vcc, v[10:11], v15
	v_mul_lo_u32 v17, v6, s9
	v_mul_f64 v[20:21], v[10:11], v[18:19]
	v_mul_f64 v[18:19], v[18:19], 0.5
	v_fma_f64 v[22:23], -v[18:19], v[20:21], 0.5
	v_fmac_f64_e32 v[20:21], v[20:21], v[22:23]
	v_fma_f64 v[24:25], -v[20:21], v[20:21], v[10:11]
	v_fmac_f64_e32 v[18:19], v[18:19], v[22:23]
	v_fmac_f64_e32 v[20:21], v[24:25], v[18:19]
	v_fma_f64 v[22:23], -v[20:21], v[20:21], v[10:11]
	v_fmac_f64_e32 v[20:21], v[22:23], v[18:19]
	v_ldexp_f64 v[18:19], v[20:21], v5
	v_cndmask_b32_e32 v11, v19, v11, vcc
	v_cndmask_b32_e32 v10, v18, v10, vcc
	v_add_f64 v[10:11], v[10:11], -1.0
	v_mul_f64 v[10:11], v[10:11], 0.5
	v_trunc_f64_e32 v[10:11], v[10:11]
	v_ldexp_f64 v[18:19], v[10:11], s27
	v_floor_f64_e32 v[18:19], v[18:19]
	v_fmac_f64_e32 v[10:11], 0xc1f00000, v[18:19]
	v_cvt_u32_f64_e32 v10, v[10:11]
	v_cvt_u32_f64_e32 v11, v[18:19]
	v_mad_u64_u32 v[18:19], s[0:1], v10, v10, v[10:11]
	v_mul_lo_u32 v5, v10, v11
	v_add3_u32 v19, v5, v19, v5
	v_lshrrev_b64 v[18:19], 1, v[18:19]
	v_sub_co_u32_e32 v8, vcc, v8, v18
	v_mul_lo_u32 v5, v7, s8
	v_mad_u64_u32 v[6:7], s[0:1], v6, s8, 0
	v_subb_co_u32_e32 v9, vcc, v9, v19, vcc
	v_add3_u32 v7, v7, v17, v5
	v_pk_mov_b32 v[18:19], s[6:7], s[6:7] op_sel:[0,1]
	v_mul_lo_u32 v5, s7, v10
	v_mad_u64_u32 v[18:19], s[0:1], s6, v10, v[18:19]
	v_mul_lo_u32 v10, s6, v11
	v_lshlrev_b64 v[6:7], 3, v[6:7]
	v_add3_u32 v19, v5, v19, v10
	v_mov_b32_e32 v5, s21
	v_add_co_u32_e32 v10, vcc, s20, v6
	v_addc_co_u32_e32 v5, vcc, v5, v7, vcc
	v_lshlrev_b64 v[6:7], 3, v[18:19]
	v_add_co_u32_e32 v10, vcc, v10, v6
	v_addc_co_u32_e32 v5, vcc, v5, v7, vcc
	v_lshlrev_b64 v[6:7], 3, v[8:9]
	v_add_co_u32_e32 v10, vcc, v10, v6
	v_addc_co_u32_e32 v11, vcc, v5, v7, vcc
	s_mov_b64 s[18:19], -1
.LBB20_14:                              ;   in Loop: Header=BB20_3 Depth=1
	s_and_b64 vcc, exec, s[18:19]
	s_cbranch_vccz .LBB20_2
; %bb.15:                               ;   in Loop: Header=BB20_3 Depth=1
	v_mov_b32_e32 v5, v4
	global_store_dwordx2 v[10:11], v[4:5], off
	s_branch .LBB20_2
.LBB20_16:
	s_endpgm
	.section	.rodata,"a",@progbits
	.p2align	6, 0x0
	.amdhsa_kernel _ZL18rocblas_trtri_fillILi128EdPKPdEvP15_rocblas_handle13rocblas_fill_ililT1_llii
		.amdhsa_group_segment_fixed_size 0
		.amdhsa_private_segment_fixed_size 0
		.amdhsa_kernarg_size 328
		.amdhsa_user_sgpr_count 6
		.amdhsa_user_sgpr_private_segment_buffer 1
		.amdhsa_user_sgpr_dispatch_ptr 0
		.amdhsa_user_sgpr_queue_ptr 0
		.amdhsa_user_sgpr_kernarg_segment_ptr 1
		.amdhsa_user_sgpr_dispatch_id 0
		.amdhsa_user_sgpr_flat_scratch_init 0
		.amdhsa_user_sgpr_kernarg_preload_length 0
		.amdhsa_user_sgpr_kernarg_preload_offset 0
		.amdhsa_user_sgpr_private_segment_size 0
		.amdhsa_uses_dynamic_stack 0
		.amdhsa_system_sgpr_private_segment_wavefront_offset 0
		.amdhsa_system_sgpr_workgroup_id_x 1
		.amdhsa_system_sgpr_workgroup_id_y 0
		.amdhsa_system_sgpr_workgroup_id_z 1
		.amdhsa_system_sgpr_workgroup_info 0
		.amdhsa_system_vgpr_workitem_id 0
		.amdhsa_next_free_vgpr 26
		.amdhsa_next_free_sgpr 28
		.amdhsa_accum_offset 28
		.amdhsa_reserve_vcc 1
		.amdhsa_reserve_flat_scratch 0
		.amdhsa_float_round_mode_32 0
		.amdhsa_float_round_mode_16_64 0
		.amdhsa_float_denorm_mode_32 3
		.amdhsa_float_denorm_mode_16_64 3
		.amdhsa_dx10_clamp 1
		.amdhsa_ieee_mode 1
		.amdhsa_fp16_overflow 0
		.amdhsa_tg_split 0
		.amdhsa_exception_fp_ieee_invalid_op 0
		.amdhsa_exception_fp_denorm_src 0
		.amdhsa_exception_fp_ieee_div_zero 0
		.amdhsa_exception_fp_ieee_overflow 0
		.amdhsa_exception_fp_ieee_underflow 0
		.amdhsa_exception_fp_ieee_inexact 0
		.amdhsa_exception_int_div_zero 0
	.end_amdhsa_kernel
	.section	.text._ZL18rocblas_trtri_fillILi128EdPKPdEvP15_rocblas_handle13rocblas_fill_ililT1_llii,"axG",@progbits,_ZL18rocblas_trtri_fillILi128EdPKPdEvP15_rocblas_handle13rocblas_fill_ililT1_llii,comdat
.Lfunc_end20:
	.size	_ZL18rocblas_trtri_fillILi128EdPKPdEvP15_rocblas_handle13rocblas_fill_ililT1_llii, .Lfunc_end20-_ZL18rocblas_trtri_fillILi128EdPKPdEvP15_rocblas_handle13rocblas_fill_ililT1_llii
                                        ; -- End function
	.section	.AMDGPU.csdata,"",@progbits
; Kernel info:
; codeLenInByte = 1968
; NumSgprs: 32
; NumVgprs: 26
; NumAgprs: 0
; TotalNumVgprs: 26
; ScratchSize: 0
; MemoryBound: 0
; FloatMode: 240
; IeeeMode: 1
; LDSByteSize: 0 bytes/workgroup (compile time only)
; SGPRBlocks: 3
; VGPRBlocks: 3
; NumSGPRsForWavesPerEU: 32
; NumVGPRsForWavesPerEU: 26
; AccumOffset: 28
; Occupancy: 8
; WaveLimiterHint : 0
; COMPUTE_PGM_RSRC2:SCRATCH_EN: 0
; COMPUTE_PGM_RSRC2:USER_SGPR: 6
; COMPUTE_PGM_RSRC2:TRAP_HANDLER: 0
; COMPUTE_PGM_RSRC2:TGID_X_EN: 1
; COMPUTE_PGM_RSRC2:TGID_Y_EN: 0
; COMPUTE_PGM_RSRC2:TGID_Z_EN: 1
; COMPUTE_PGM_RSRC2:TIDIG_COMP_CNT: 0
; COMPUTE_PGM_RSRC3_GFX90A:ACCUM_OFFSET: 6
; COMPUTE_PGM_RSRC3_GFX90A:TG_SPLIT: 0
	.section	.text._ZL26rocblas_trtri_small_kernelILi16EdPKPKdPKPdEv13rocblas_fill_17rocblas_diagonal_iT1_lillT2_lilli,"axG",@progbits,_ZL26rocblas_trtri_small_kernelILi16EdPKPKdPKPdEv13rocblas_fill_17rocblas_diagonal_iT1_lillT2_lilli,comdat
	.globl	_ZL26rocblas_trtri_small_kernelILi16EdPKPKdPKPdEv13rocblas_fill_17rocblas_diagonal_iT1_lillT2_lilli ; -- Begin function _ZL26rocblas_trtri_small_kernelILi16EdPKPKdPKPdEv13rocblas_fill_17rocblas_diagonal_iT1_lillT2_lilli
	.p2align	8
	.type	_ZL26rocblas_trtri_small_kernelILi16EdPKPKdPKPdEv13rocblas_fill_17rocblas_diagonal_iT1_lillT2_lilli,@function
_ZL26rocblas_trtri_small_kernelILi16EdPKPKdPKPdEv13rocblas_fill_17rocblas_diagonal_iT1_lillT2_lilli: ; @_ZL26rocblas_trtri_small_kernelILi16EdPKPKdPKPdEv13rocblas_fill_17rocblas_diagonal_iT1_lillT2_lilli
; %bb.0:
	s_load_dwordx4 s[8:11], s[4:5], 0x0
	s_waitcnt lgkmcnt(0)
	s_cmp_lt_i32 s10, 1
	s_cbranch_scc1 .LBB21_46
; %bb.1:
	s_load_dwordx4 s[16:19], s[4:5], 0x30
	s_load_dwordx2 s[20:21], s[4:5], 0x40
	s_mov_b32 s0, s7
	s_mov_b32 s1, 0
	s_lshl_b64 s[26:27], s[0:1], 3
	s_waitcnt lgkmcnt(0)
	s_add_u32 s0, s18, s26
	s_addc_u32 s1, s19, s27
	s_load_dwordx2 s[18:19], s[0:1], 0x0
	v_cmp_le_u32_e64 s[2:3], s10, v0
	v_cmp_gt_u32_e64 s[0:1], s10, v0
	s_and_saveexec_b64 s[22:23], s[0:1]
	s_cbranch_execz .LBB21_14
; %bb.2:
	s_load_dwordx4 s[12:15], s[4:5], 0x10
	s_load_dword s24, s[4:5], 0x20
	s_mul_i32 s7, s6, s17
	s_mul_hi_u32 s11, s6, s16
	s_mul_i32 s16, s6, s16
	s_waitcnt lgkmcnt(0)
	s_add_u32 s12, s12, s26
	s_addc_u32 s13, s13, s27
	s_load_dwordx2 s[12:13], s[12:13], 0x0
	s_add_i32 s17, s11, s7
	s_cmpk_lg_i32 s8, 0x7a
	s_mov_b64 s[26:27], -1
	s_cbranch_scc0 .LBB21_6
; %bb.3:
	s_ashr_i32 s25, s24, 31
	s_lshl_b32 s7, s10, 3
	s_ashr_i32 s11, s10, 31
	s_add_u32 s26, s10, -1
	s_addc_u32 s11, s11, -1
	s_mul_i32 s27, s26, s25
	s_mul_hi_u32 s28, s26, s24
	s_add_i32 s27, s28, s27
	s_mul_i32 s11, s11, s24
	s_add_i32 s27, s27, s11
	s_mul_i32 s26, s26, s24
	s_lshl_b64 s[26:27], s[26:27], 3
	s_lshl_b64 s[28:29], s[16:17], 3
	s_add_u32 s11, s26, s28
	s_addc_u32 s28, s27, s29
	s_lshl_b64 s[26:27], s[14:15], 3
	s_add_u32 s11, s11, s26
	s_addc_u32 s26, s28, s27
	s_waitcnt lgkmcnt(0)
	s_add_u32 s11, s12, s11
	v_lshlrev_b32_e32 v2, 3, v0
	s_addc_u32 s26, s13, s26
	s_lshl_b64 s[28:29], s[24:25], 3
	v_sub_u32_e32 v1, s7, v2
	v_add_co_u32_e32 v2, vcc, s11, v2
	s_sub_u32 s11, 0, s28
	v_mov_b32_e32 v3, s26
	s_subb_u32 s25, 0, s29
	v_add_u32_e32 v1, -8, v1
	v_addc_co_u32_e32 v3, vcc, 0, v3, vcc
	s_mov_b64 s[26:27], 0
	v_mov_b32_e32 v4, s25
	s_mov_b32 s25, s10
.LBB21_4:                               ; =>This Inner Loop Header: Depth=1
	global_load_dwordx2 v[6:7], v[2:3], off
	v_add_co_u32_e32 v2, vcc, s11, v2
	s_add_i32 s25, s25, -1
	v_addc_co_u32_e32 v3, vcc, v3, v4, vcc
	v_cmp_le_i32_e32 vcc, s25, v0
	s_or_b64 s[26:27], vcc, s[26:27]
	s_waitcnt vmcnt(0)
	ds_write_b64 v1, v[6:7]
	v_add_u32_e32 v1, s7, v1
	s_andn2_b64 exec, exec, s[26:27]
	s_cbranch_execnz .LBB21_4
; %bb.5:
	s_or_b64 exec, exec, s[26:27]
	s_mov_b64 s[26:27], 0
.LBB21_6:
	s_and_b64 vcc, exec, s[26:27]
	s_cbranch_vccz .LBB21_14
; %bb.7:
	v_mov_b32_e32 v1, 0
	s_ashr_i32 s25, s24, 31
	v_add_u32_e32 v4, 1, v0
	v_cmp_lt_u32_e32 vcc, 2, v0
	s_and_saveexec_b64 s[26:27], vcc
	s_cbranch_execz .LBB21_11
; %bb.8:
	s_lshl_b64 s[28:29], s[14:15], 3
	s_waitcnt lgkmcnt(0)
	s_add_u32 s7, s12, s28
	s_addc_u32 s11, s13, s29
	s_lshl_b64 s[28:29], s[16:17], 3
	s_add_u32 s7, s7, s28
	s_addc_u32 s11, s11, s29
	v_lshlrev_b32_e32 v5, 3, v0
	v_mov_b32_e32 v1, s11
	v_add_co_u32_e32 v2, vcc, s7, v5
	s_mul_hi_i32 s41, s24, 24
	s_lshl_b64 s[28:29], s[24:25], 5
	s_lshl_b64 s[30:31], s[24:25], 4
	;; [unrolled: 1-line block ×3, first 2 shown]
	v_addc_co_u32_e32 v3, vcc, 0, v1, vcc
	v_and_b32_e32 v1, 28, v4
	s_mul_i32 s7, s24, 24
	s_lshl_b32 s11, s10, 3
	s_lshl_b32 s33, s10, 5
	;; [unrolled: 1-line block ×3, first 2 shown]
	s_mul_i32 s39, s10, 24
	s_mov_b32 s40, 0
	s_mov_b64 s[36:37], 0
	v_mov_b32_e32 v6, s35
	v_mov_b32_e32 v7, s31
	;; [unrolled: 1-line block ×4, first 2 shown]
.LBB21_9:                               ; =>This Inner Loop Header: Depth=1
	v_add_co_u32_e32 v12, vcc, s34, v2
	v_addc_co_u32_e32 v13, vcc, v3, v6, vcc
	v_add_co_u32_e32 v14, vcc, s30, v2
	v_addc_co_u32_e32 v15, vcc, v3, v7, vcc
	global_load_dwordx2 v[10:11], v[2:3], off
	v_add_co_u32_e32 v16, vcc, s7, v2
	v_addc_co_u32_e32 v17, vcc, v3, v8, vcc
	global_load_dwordx2 v[18:19], v[12:13], off
	global_load_dwordx2 v[20:21], v[14:15], off
	;; [unrolled: 1-line block ×3, first 2 shown]
	v_add_co_u32_e32 v2, vcc, s28, v2
	s_add_i32 s40, s40, 4
	v_addc_co_u32_e32 v3, vcc, v3, v9, vcc
	v_cmp_eq_u32_e32 vcc, s40, v1
	v_add_u32_e32 v12, s11, v5
	v_add_u32_e32 v13, s38, v5
	;; [unrolled: 1-line block ×3, first 2 shown]
	s_or_b64 s[36:37], vcc, s[36:37]
	s_waitcnt vmcnt(3)
	ds_write_b64 v5, v[10:11]
	v_add_u32_e32 v5, s33, v5
	s_waitcnt vmcnt(2)
	ds_write_b64 v12, v[18:19]
	s_waitcnt vmcnt(1)
	ds_write_b64 v13, v[20:21]
	;; [unrolled: 2-line block ×3, first 2 shown]
	s_andn2_b64 exec, exec, s[36:37]
	s_cbranch_execnz .LBB21_9
; %bb.10:
	s_or_b64 exec, exec, s[36:37]
.LBB21_11:
	s_or_b64 exec, exec, s[26:27]
	v_and_b32_e32 v4, 3, v4
	v_cmp_ne_u32_e32 vcc, 0, v4
	s_and_b64 exec, exec, vcc
	s_cbranch_execz .LBB21_14
; %bb.12:
	v_mul_lo_u32 v2, v1, s10
	s_lshl_b32 s7, s10, 3
	s_lshl_b64 s[16:17], s[16:17], 3
	s_lshl_b64 s[14:15], s[14:15], 3
	v_add_lshl_u32 v5, v0, v2, 3
	v_mad_i64_i32 v[2:3], s[26:27], s24, v1, 0
	s_add_u32 s11, s14, s16
	v_lshlrev_b64 v[2:3], 3, v[2:3]
	s_addc_u32 s14, s15, s17
	v_mov_b32_e32 v1, s14
	v_add_co_u32_e32 v2, vcc, s11, v2
	v_addc_co_u32_e32 v1, vcc, v1, v3, vcc
	v_lshlrev_b32_e32 v3, 3, v0
	v_add_co_u32_e32 v2, vcc, v2, v3
	v_addc_co_u32_e32 v1, vcc, 0, v1, vcc
	s_waitcnt lgkmcnt(0)
	v_mov_b32_e32 v3, s13
	v_add_co_u32_e32 v2, vcc, s12, v2
	s_lshl_b64 s[12:13], s[24:25], 3
	v_addc_co_u32_e32 v3, vcc, v3, v1, vcc
	s_mov_b64 s[14:15], 0
	v_mov_b32_e32 v1, s13
.LBB21_13:                              ; =>This Inner Loop Header: Depth=1
	global_load_dwordx2 v[6:7], v[2:3], off
	v_add_co_u32_e32 v2, vcc, s12, v2
	v_addc_co_u32_e32 v3, vcc, v3, v1, vcc
	v_add_u32_e32 v4, -1, v4
	v_cmp_eq_u32_e32 vcc, 0, v4
	s_or_b64 s[14:15], vcc, s[14:15]
	s_waitcnt vmcnt(0)
	ds_write_b64 v5, v[6:7]
	v_add_u32_e32 v5, s7, v5
	s_andn2_b64 exec, exec, s[14:15]
	s_cbranch_execnz .LBB21_13
.LBB21_14:
	s_or_b64 exec, exec, s[22:23]
	s_waitcnt lgkmcnt(0)
	; wave barrier
	s_waitcnt lgkmcnt(0)
                                        ; implicit-def: $vgpr2
	s_waitcnt lgkmcnt(0)
	s_and_saveexec_b64 s[12:13], s[2:3]
	s_xor_b64 s[2:3], exec, s[12:13]
; %bb.15:
	v_mad_u64_u32 v[2:3], s[12:13], v0, s10, v[0:1]
; %bb.16:
	s_andn2_saveexec_b64 s[2:3], s[2:3]
	s_cbranch_execz .LBB21_22
; %bb.17:
	v_mad_u64_u32 v[2:3], s[12:13], v0, s10, v[0:1]
	v_mov_b32_e32 v6, 0
	s_cmpk_eq_i32 s9, 0x84
	v_lshlrev_b32_e32 v1, 3, v2
	v_mov_b32_e32 v7, 0x3ff00000
	s_cbranch_scc1 .LBB21_21
; %bb.18:
	ds_read_b64 v[4:5], v1
	v_mov_b32_e32 v6, 0
	v_mov_b32_e32 v7, 0x3ff00000
	s_waitcnt lgkmcnt(0)
	v_cmp_neq_f64_e32 vcc, 0, v[4:5]
	s_and_saveexec_b64 s[12:13], vcc
; %bb.19:
	v_div_scale_f64 v[6:7], s[14:15], v[4:5], v[4:5], 1.0
	v_rcp_f64_e32 v[8:9], v[6:7]
	v_div_scale_f64 v[10:11], vcc, 1.0, v[4:5], 1.0
	v_fma_f64 v[12:13], -v[6:7], v[8:9], 1.0
	v_fmac_f64_e32 v[8:9], v[8:9], v[12:13]
	v_fma_f64 v[12:13], -v[6:7], v[8:9], 1.0
	v_fmac_f64_e32 v[8:9], v[8:9], v[12:13]
	v_mul_f64 v[12:13], v[10:11], v[8:9]
	v_fma_f64 v[6:7], -v[6:7], v[12:13], v[10:11]
	v_div_fmas_f64 v[6:7], v[6:7], v[8:9], v[12:13]
	v_div_fixup_f64 v[6:7], v[6:7], v[4:5], 1.0
; %bb.20:
	s_or_b64 exec, exec, s[12:13]
.LBB21_21:
	ds_write_b64 v1, v[6:7]
.LBB21_22:
	s_or_b64 exec, exec, s[2:3]
	s_lshl_b32 s11, s10, 3
	v_lshlrev_b32_e32 v1, 3, v2
	s_mov_b32 s7, 8
	s_add_i32 s9, s11, 8
	v_add_lshl_u32 v4, v0, s10, 3
	s_mov_b32 s12, 0
	s_waitcnt lgkmcnt(0)
	; wave barrier
	s_waitcnt lgkmcnt(0)
	s_branch .LBB21_24
.LBB21_23:                              ;   in Loop: Header=BB21_24 Depth=1
	s_add_i32 s7, s7, s9
	s_cmp_eq_u32 s12, s10
	v_add_u32_e32 v4, s11, v4
	s_waitcnt lgkmcnt(0)
	; wave barrier
	s_cbranch_scc1 .LBB21_33
.LBB21_24:                              ; =>This Loop Header: Depth=1
                                        ;     Child Loop BB21_29 Depth 2
	s_mul_i32 s13, s12, s10
	v_cmp_lt_u32_e32 vcc, s12, v0
	v_pk_mov_b32 v[2:3], 0, 0
	v_add_lshl_u32 v5, s13, v0, 3
	s_and_saveexec_b64 s[2:3], vcc
	s_cbranch_execz .LBB21_26
; %bb.25:                               ;   in Loop: Header=BB21_24 Depth=1
	s_add_i32 s13, s13, s12
	s_lshl_b32 s13, s13, 3
	v_mov_b32_e32 v6, s13
	ds_read_b64 v[2:3], v5
	ds_read_b64 v[6:7], v6
	s_waitcnt lgkmcnt(0)
	v_fma_f64 v[2:3], v[2:3], v[6:7], 0
.LBB21_26:                              ;   in Loop: Header=BB21_24 Depth=1
	s_or_b64 exec, exec, s[2:3]
	s_add_i32 s12, s12, 1
	s_cmp_ge_i32 s12, s10
	s_waitcnt lgkmcnt(0)
	; wave barrier
	s_cbranch_scc1 .LBB21_23
; %bb.27:                               ;   in Loop: Header=BB21_24 Depth=1
	v_mov_b32_e32 v6, v4
	s_mov_b32 s13, s7
	s_mov_b32 s14, s12
	s_branch .LBB21_29
.LBB21_28:                              ;   in Loop: Header=BB21_29 Depth=2
	s_or_b64 exec, exec, s[2:3]
	s_add_i32 s14, s14, 1
	s_add_i32 s13, s13, 8
	s_cmp_ge_i32 s14, s10
	v_add_u32_e32 v6, s11, v6
	s_waitcnt lgkmcnt(0)
	; wave barrier
	s_cbranch_scc1 .LBB21_23
.LBB21_29:                              ;   Parent Loop BB21_24 Depth=1
                                        ; =>  This Inner Loop Header: Depth=2
	v_cmp_eq_u32_e32 vcc, s14, v0
	s_and_saveexec_b64 s[2:3], vcc
	s_cbranch_execz .LBB21_31
; %bb.30:                               ;   in Loop: Header=BB21_29 Depth=2
	ds_read_b64 v[8:9], v1
	v_add_f64 v[10:11], -v[2:3], 0
	s_waitcnt lgkmcnt(0)
	v_mul_f64 v[8:9], v[10:11], v[8:9]
	ds_write_b64 v5, v[8:9]
.LBB21_31:                              ;   in Loop: Header=BB21_29 Depth=2
	s_or_b64 exec, exec, s[2:3]
	v_cmp_lt_u32_e32 vcc, s14, v0
	s_waitcnt lgkmcnt(0)
	; wave barrier
	s_waitcnt lgkmcnt(0)
	s_and_saveexec_b64 s[2:3], vcc
	s_cbranch_execz .LBB21_28
; %bb.32:                               ;   in Loop: Header=BB21_29 Depth=2
	v_mov_b32_e32 v7, s13
	ds_read_b64 v[8:9], v6
	ds_read_b64 v[10:11], v7
	s_waitcnt lgkmcnt(0)
	v_fmac_f64_e32 v[2:3], v[8:9], v[10:11]
	s_branch .LBB21_28
.LBB21_33:
	s_and_saveexec_b64 s[2:3], s[0:1]
	s_cbranch_execz .LBB21_46
; %bb.34:
	s_load_dwordx2 s[2:3], s[4:5], 0x58
	s_load_dword s0, s[4:5], 0x48
	s_mov_b64 s[4:5], -1
	v_lshlrev_b32_e32 v1, 3, v0
	s_waitcnt lgkmcnt(0)
	s_mul_i32 s1, s6, s3
	s_mul_hi_u32 s3, s6, s2
	s_add_i32 s3, s3, s1
	s_mul_i32 s2, s6, s2
	s_cmpk_lg_i32 s8, 0x7a
	s_cbranch_scc0 .LBB21_38
; %bb.35:
	s_add_i32 s6, s10, -1
	s_ashr_i32 s1, s0, 31
	s_mul_i32 s7, s1, s6
	s_mul_hi_u32 s8, s0, s6
	s_add_i32 s7, s8, s7
	s_mul_i32 s6, s0, s6
	s_lshl_b64 s[4:5], s[2:3], 3
	s_lshl_b64 s[6:7], s[6:7], 3
	s_add_u32 s6, s4, s6
	s_addc_u32 s7, s5, s7
	s_lshl_b64 s[4:5], s[20:21], 3
	s_add_u32 s4, s6, s4
	s_addc_u32 s5, s7, s5
	s_add_u32 s4, s18, s4
	s_addc_u32 s5, s19, s5
	s_lshl_b64 s[6:7], s[0:1], 3
	v_lshlrev_b32_e32 v4, 3, v0
	s_sub_u32 s1, 0, s6
	v_mov_b32_e32 v3, s5
	v_add_co_u32_e32 v2, vcc, s4, v4
	s_subb_u32 s6, 0, s7
	v_sub_u32_e32 v4, s11, v4
	v_addc_co_u32_e32 v3, vcc, 0, v3, vcc
	s_mov_b64 s[4:5], 0
	v_add_u32_e32 v4, -8, v4
	v_mov_b32_e32 v5, s6
	s_mov_b32 s6, s10
.LBB21_36:                              ; =>This Inner Loop Header: Depth=1
	ds_read_b64 v[6:7], v4
	s_add_i32 s6, s6, -1
	v_cmp_le_i32_e32 vcc, s6, v0
	s_or_b64 s[4:5], vcc, s[4:5]
	v_add_u32_e32 v4, s11, v4
	s_waitcnt lgkmcnt(0)
	global_store_dwordx2 v[2:3], v[6:7], off
	v_add_co_u32_e32 v2, vcc, s1, v2
	v_addc_co_u32_e32 v3, vcc, v3, v5, vcc
	s_andn2_b64 exec, exec, s[4:5]
	s_cbranch_execnz .LBB21_36
; %bb.37:
	s_or_b64 exec, exec, s[4:5]
	s_mov_b64 s[4:5], 0
.LBB21_38:
	s_and_b64 vcc, exec, s[4:5]
	s_cbranch_vccz .LBB21_46
; %bb.39:
	v_mov_b32_e32 v4, 0
	s_ashr_i32 s1, s0, 31
	v_add_u32_e32 v5, 1, v0
	v_cmp_lt_u32_e32 vcc, 2, v0
	s_and_saveexec_b64 s[4:5], vcc
	s_cbranch_execz .LBB21_43
; %bb.40:
	s_lshl_b64 s[6:7], s[20:21], 3
	s_add_u32 s8, s18, s6
	s_addc_u32 s9, s19, s7
	s_lshl_b64 s[6:7], s[2:3], 3
	s_add_u32 s6, s8, s6
	s_addc_u32 s7, s9, s7
	v_mov_b32_e32 v3, s7
	v_add_co_u32_e32 v2, vcc, s6, v1
	s_mul_hi_i32 s25, s0, 24
	s_lshl_b64 s[6:7], s[0:1], 5
	s_lshl_b64 s[8:9], s[0:1], 4
	;; [unrolled: 1-line block ×3, first 2 shown]
	v_addc_co_u32_e32 v3, vcc, 0, v3, vcc
	v_and_b32_e32 v4, 28, v5
	s_mul_i32 s16, s0, 24
	s_lshl_b32 s17, s10, 5
	s_lshl_b32 s22, s10, 4
	s_mul_i32 s23, s10, 24
	s_mov_b32 s24, 0
	s_mov_b64 s[14:15], 0
	v_mov_b32_e32 v6, s13
	v_mov_b32_e32 v7, s9
	;; [unrolled: 1-line block ×5, first 2 shown]
.LBB21_41:                              ; =>This Inner Loop Header: Depth=1
	v_add_co_u32_e32 v14, vcc, s12, v2
	v_addc_co_u32_e32 v15, vcc, v3, v6, vcc
	ds_read_b64 v[12:13], v10
	v_add_co_u32_e32 v16, vcc, s8, v2
	v_add_u32_e32 v11, s11, v10
	v_add_u32_e32 v22, s22, v10
	v_addc_co_u32_e32 v17, vcc, v3, v7, vcc
	v_add_u32_e32 v24, s23, v10
	v_add_co_u32_e32 v18, vcc, s16, v2
	ds_read_b64 v[20:21], v11
	ds_read_b64 v[22:23], v22
	;; [unrolled: 1-line block ×3, first 2 shown]
	v_addc_co_u32_e32 v19, vcc, v3, v8, vcc
	s_add_i32 s24, s24, 4
	v_cmp_eq_u32_e32 vcc, s24, v4
	s_or_b64 s[14:15], vcc, s[14:15]
	s_waitcnt lgkmcnt(3)
	global_store_dwordx2 v[2:3], v[12:13], off
	v_add_co_u32_e32 v2, vcc, s6, v2
	v_add_u32_e32 v10, s17, v10
	v_addc_co_u32_e32 v3, vcc, v3, v9, vcc
	s_waitcnt lgkmcnt(2)
	global_store_dwordx2 v[14:15], v[20:21], off
	s_waitcnt lgkmcnt(1)
	global_store_dwordx2 v[16:17], v[22:23], off
	;; [unrolled: 2-line block ×3, first 2 shown]
	s_andn2_b64 exec, exec, s[14:15]
	s_cbranch_execnz .LBB21_41
; %bb.42:
	s_or_b64 exec, exec, s[14:15]
.LBB21_43:
	s_or_b64 exec, exec, s[4:5]
	v_and_b32_e32 v5, 3, v5
	v_cmp_ne_u32_e32 vcc, 0, v5
	s_and_b64 exec, exec, vcc
	s_cbranch_execz .LBB21_46
; %bb.44:
	v_mad_i64_i32 v[2:3], s[4:5], s0, v4, 0
	s_lshl_b64 s[2:3], s[2:3], 3
	s_lshl_b64 s[4:5], s[20:21], 3
	s_add_u32 s2, s4, s2
	v_lshlrev_b64 v[2:3], 3, v[2:3]
	s_addc_u32 s3, s5, s3
	v_mov_b32_e32 v6, s3
	v_add_co_u32_e32 v2, vcc, s2, v2
	v_addc_co_u32_e32 v3, vcc, v6, v3, vcc
	v_add_co_u32_e32 v1, vcc, v2, v1
	v_addc_co_u32_e32 v3, vcc, 0, v3, vcc
	v_mov_b32_e32 v6, s19
	v_add_co_u32_e32 v2, vcc, s18, v1
	s_lshl_b64 s[0:1], s[0:1], 3
	v_mul_lo_u32 v1, v4, s10
	v_addc_co_u32_e32 v3, vcc, v6, v3, vcc
	v_add_lshl_u32 v0, v0, v1, 3
	s_mov_b64 s[2:3], 0
	v_mov_b32_e32 v1, s1
.LBB21_45:                              ; =>This Inner Loop Header: Depth=1
	ds_read_b64 v[6:7], v0
	v_add_u32_e32 v5, -1, v5
	v_cmp_eq_u32_e32 vcc, 0, v5
	s_or_b64 s[2:3], vcc, s[2:3]
	v_add_u32_e32 v0, s11, v0
	s_waitcnt lgkmcnt(0)
	global_store_dwordx2 v[2:3], v[6:7], off
	v_add_co_u32_e32 v2, vcc, s0, v2
	v_addc_co_u32_e32 v3, vcc, v3, v1, vcc
	s_andn2_b64 exec, exec, s[2:3]
	s_cbranch_execnz .LBB21_45
.LBB21_46:
	s_endpgm
	.section	.rodata,"a",@progbits
	.p2align	6, 0x0
	.amdhsa_kernel _ZL26rocblas_trtri_small_kernelILi16EdPKPKdPKPdEv13rocblas_fill_17rocblas_diagonal_iT1_lillT2_lilli
		.amdhsa_group_segment_fixed_size 2048
		.amdhsa_private_segment_fixed_size 0
		.amdhsa_kernarg_size 100
		.amdhsa_user_sgpr_count 6
		.amdhsa_user_sgpr_private_segment_buffer 1
		.amdhsa_user_sgpr_dispatch_ptr 0
		.amdhsa_user_sgpr_queue_ptr 0
		.amdhsa_user_sgpr_kernarg_segment_ptr 1
		.amdhsa_user_sgpr_dispatch_id 0
		.amdhsa_user_sgpr_flat_scratch_init 0
		.amdhsa_user_sgpr_kernarg_preload_length 0
		.amdhsa_user_sgpr_kernarg_preload_offset 0
		.amdhsa_user_sgpr_private_segment_size 0
		.amdhsa_uses_dynamic_stack 0
		.amdhsa_system_sgpr_private_segment_wavefront_offset 0
		.amdhsa_system_sgpr_workgroup_id_x 1
		.amdhsa_system_sgpr_workgroup_id_y 0
		.amdhsa_system_sgpr_workgroup_id_z 1
		.amdhsa_system_sgpr_workgroup_info 0
		.amdhsa_system_vgpr_workitem_id 0
		.amdhsa_next_free_vgpr 26
		.amdhsa_next_free_sgpr 42
		.amdhsa_accum_offset 28
		.amdhsa_reserve_vcc 1
		.amdhsa_reserve_flat_scratch 0
		.amdhsa_float_round_mode_32 0
		.amdhsa_float_round_mode_16_64 0
		.amdhsa_float_denorm_mode_32 3
		.amdhsa_float_denorm_mode_16_64 3
		.amdhsa_dx10_clamp 1
		.amdhsa_ieee_mode 1
		.amdhsa_fp16_overflow 0
		.amdhsa_tg_split 0
		.amdhsa_exception_fp_ieee_invalid_op 0
		.amdhsa_exception_fp_denorm_src 0
		.amdhsa_exception_fp_ieee_div_zero 0
		.amdhsa_exception_fp_ieee_overflow 0
		.amdhsa_exception_fp_ieee_underflow 0
		.amdhsa_exception_fp_ieee_inexact 0
		.amdhsa_exception_int_div_zero 0
	.end_amdhsa_kernel
	.section	.text._ZL26rocblas_trtri_small_kernelILi16EdPKPKdPKPdEv13rocblas_fill_17rocblas_diagonal_iT1_lillT2_lilli,"axG",@progbits,_ZL26rocblas_trtri_small_kernelILi16EdPKPKdPKPdEv13rocblas_fill_17rocblas_diagonal_iT1_lillT2_lilli,comdat
.Lfunc_end21:
	.size	_ZL26rocblas_trtri_small_kernelILi16EdPKPKdPKPdEv13rocblas_fill_17rocblas_diagonal_iT1_lillT2_lilli, .Lfunc_end21-_ZL26rocblas_trtri_small_kernelILi16EdPKPKdPKPdEv13rocblas_fill_17rocblas_diagonal_iT1_lillT2_lilli
                                        ; -- End function
	.section	.AMDGPU.csdata,"",@progbits
; Kernel info:
; codeLenInByte = 1992
; NumSgprs: 46
; NumVgprs: 26
; NumAgprs: 0
; TotalNumVgprs: 26
; ScratchSize: 0
; MemoryBound: 0
; FloatMode: 240
; IeeeMode: 1
; LDSByteSize: 2048 bytes/workgroup (compile time only)
; SGPRBlocks: 5
; VGPRBlocks: 3
; NumSGPRsForWavesPerEU: 46
; NumVGPRsForWavesPerEU: 26
; AccumOffset: 28
; Occupancy: 8
; WaveLimiterHint : 0
; COMPUTE_PGM_RSRC2:SCRATCH_EN: 0
; COMPUTE_PGM_RSRC2:USER_SGPR: 6
; COMPUTE_PGM_RSRC2:TRAP_HANDLER: 0
; COMPUTE_PGM_RSRC2:TGID_X_EN: 1
; COMPUTE_PGM_RSRC2:TGID_Y_EN: 0
; COMPUTE_PGM_RSRC2:TGID_Z_EN: 1
; COMPUTE_PGM_RSRC2:TIDIG_COMP_CNT: 0
; COMPUTE_PGM_RSRC3_GFX90A:ACCUM_OFFSET: 6
; COMPUTE_PGM_RSRC3_GFX90A:TG_SPLIT: 0
	.section	.text._ZL29rocblas_trtri_diagonal_kernelILi16EdPKPKdPKPdEv13rocblas_fill_17rocblas_diagonal_iT1_lillT2_lilli,"axG",@progbits,_ZL29rocblas_trtri_diagonal_kernelILi16EdPKPKdPKPdEv13rocblas_fill_17rocblas_diagonal_iT1_lillT2_lilli,comdat
	.globl	_ZL29rocblas_trtri_diagonal_kernelILi16EdPKPKdPKPdEv13rocblas_fill_17rocblas_diagonal_iT1_lillT2_lilli ; -- Begin function _ZL29rocblas_trtri_diagonal_kernelILi16EdPKPKdPKPdEv13rocblas_fill_17rocblas_diagonal_iT1_lillT2_lilli
	.p2align	8
	.type	_ZL29rocblas_trtri_diagonal_kernelILi16EdPKPKdPKPdEv13rocblas_fill_17rocblas_diagonal_iT1_lillT2_lilli,@function
_ZL29rocblas_trtri_diagonal_kernelILi16EdPKPKdPKPdEv13rocblas_fill_17rocblas_diagonal_iT1_lillT2_lilli: ; @_ZL29rocblas_trtri_diagonal_kernelILi16EdPKPKdPKPdEv13rocblas_fill_17rocblas_diagonal_iT1_lillT2_lilli
; %bb.0:
	s_load_dwordx4 s[8:11], s[4:5], 0x0
	s_mov_b32 s0, s7
	s_waitcnt lgkmcnt(0)
	s_ashr_i32 s1, s10, 31
	s_lshr_b32 s1, s1, 27
	s_add_i32 s1, s10, s1
	s_ashr_i32 s1, s1, 5
	v_cvt_f32_u32_e32 v1, s1
	s_sub_i32 s2, 0, s1
	v_rcp_iflag_f32_e32 v1, v1
	v_mul_f32_e32 v1, 0x4f7ffffe, v1
	v_cvt_u32_f32_e32 v1, v1
	v_readfirstlane_b32 s3, v1
	s_mul_i32 s2, s2, s3
	s_mul_hi_u32 s2, s3, s2
	s_add_i32 s3, s3, s2
	s_mul_hi_u32 s2, s6, s3
	s_mul_i32 s3, s2, s1
	s_sub_i32 s3, s6, s3
	s_add_i32 s7, s2, 1
	s_sub_i32 s11, s3, s1
	s_cmp_ge_u32 s3, s1
	s_cselect_b32 s2, s7, s2
	s_cselect_b32 s3, s11, s3
	s_add_i32 s7, s2, 1
	s_cmp_ge_u32 s3, s1
	s_cselect_b32 s30, s7, s2
	s_mul_i32 s1, s30, s1
	s_sub_i32 s31, s6, s1
	s_lshl_b32 s2, s31, 4
	s_cmp_eq_u32 s10, s2
	s_mov_b32 s1, 0
	s_cbranch_scc1 .LBB22_101
; %bb.1:
	s_load_dwordx4 s[12:15], s[4:5], 0x10
	s_load_dwordx4 s[16:19], s[4:5], 0x30
	s_load_dwordx2 s[20:21], s[4:5], 0x40
	s_lshl_b64 s[0:1], s[0:1], 3
	v_mov_b32_e32 v2, v0
	s_waitcnt lgkmcnt(0)
	s_add_u32 s6, s12, s0
	s_addc_u32 s7, s13, s1
	s_add_u32 s0, s18, s0
	s_addc_u32 s1, s19, s1
	s_load_dwordx2 s[22:23], s[6:7], 0x0
	s_load_dwordx2 s[12:13], s[0:1], 0x0
	s_sub_i32 s29, s10, s2
	s_min_u32 s28, s29, 16
	s_lshl_b32 s24, s28, 1
	v_cmp_gt_u32_e64 s[6:7], s28, v0
	v_cmp_le_u32_e64 s[0:1], s28, v0
	v_cmp_gt_u32_e64 s[2:3], s24, v0
	v_cmp_le_u32_e32 vcc, s24, v0
	s_and_saveexec_b64 s[10:11], s[0:1]
	s_cbranch_execz .LBB22_7
; %bb.2:
                                        ; implicit-def: $vgpr2
	s_and_saveexec_b64 s[18:19], vcc
	s_xor_b64 s[18:19], exec, s[18:19]
; %bb.3:
	v_subrev_u32_e32 v2, s24, v0
; %bb.4:
	s_andn2_saveexec_b64 s[18:19], s[18:19]
; %bb.5:
	v_subrev_u32_e32 v2, s28, v0
; %bb.6:
	s_or_b64 exec, exec, s[18:19]
.LBB22_7:
	s_or_b64 exec, exec, s[10:11]
	s_load_dword s10, s[4:5], 0x20
	v_mov_b32_e32 v1, 0x1800
	v_mov_b32_e32 v3, 0x1000
	v_cndmask_b32_e64 v1, 0, v1, s[2:3]
	v_cndmask_b32_e64 v14, v1, v3, s[6:7]
	s_waitcnt lgkmcnt(0)
	s_ashr_i32 s11, s10, 31
	s_lshl_b64 s[6:7], s[10:11], 5
	s_add_u32 s6, s6, 32
	s_addc_u32 s7, s7, 0
	s_mul_i32 s7, s7, s31
	s_mul_hi_u32 s18, s6, s31
	s_add_i32 s7, s18, s7
	s_mul_i32 s17, s30, s17
	s_mul_hi_u32 s18, s30, s16
	s_mul_i32 s6, s6, s31
	s_add_i32 s17, s18, s17
	s_mul_i32 s16, s30, s16
	s_and_saveexec_b64 s[18:19], vcc
	s_xor_b64 s[18:19], exec, s[18:19]
	s_cbranch_execz .LBB22_17
; %bb.8:
	s_mul_i32 s24, s28, 3
	v_cmp_gt_u32_e32 vcc, s24, v0
	s_and_saveexec_b64 s[24:25], vcc
	s_cbranch_execz .LBB22_16
; %bb.9:
	s_cmpk_eq_i32 s8, 0x7a
	s_mov_b64 s[26:27], -1
	s_cbranch_scc1 .LBB22_13
; %bb.10:
	s_add_i32 s34, s28, -1
	s_mul_i32 s27, s28, s34
	s_lshl_b32 s27, s27, 3
	v_lshlrev_b32_e32 v1, 3, v2
	s_lshl_b32 s33, s28, 3
	s_add_i32 s26, s28, 1
	v_add3_u32 v1, s27, v1, v14
	s_sub_i32 s27, 0, s33
	s_lshl_b64 s[36:37], s[16:17], 3
	s_lshl_b64 s[38:39], s[6:7], 3
	s_mov_b32 s35, 0
	s_add_u32 s36, s36, s38
	s_addc_u32 s37, s37, s39
	s_lshl_b64 s[34:35], s[34:35], 3
	s_add_u32 s33, s33, s34
	s_addc_u32 s34, 0, s35
	s_mul_i32 s35, s33, s11
	s_mul_hi_u32 s38, s33, s10
	s_add_i32 s35, s38, s35
	s_mul_i32 s34, s34, s10
	s_add_i32 s35, s35, s34
	s_mul_i32 s33, s33, s10
	s_add_u32 s33, s36, s33
	s_addc_u32 s36, s37, s35
	s_lshl_b64 s[34:35], s[14:15], 3
	s_add_u32 s33, s33, s34
	s_addc_u32 s34, s36, s35
	s_add_u32 s33, s22, s33
	v_ashrrev_i32_e32 v3, 31, v2
	s_addc_u32 s34, s23, s34
	v_lshlrev_b64 v[4:5], 3, v[2:3]
	v_mov_b32_e32 v3, s34
	s_lshl_b64 s[34:35], s[10:11], 3
	v_add_co_u32_e32 v4, vcc, s33, v4
	s_sub_u32 s33, 0, s34
	s_subb_u32 s34, 0, s35
	v_addc_co_u32_e32 v5, vcc, v3, v5, vcc
	v_mov_b32_e32 v3, s34
.LBB22_11:                              ; =>This Inner Loop Header: Depth=1
	global_load_dwordx2 v[6:7], v[4:5], off
	s_add_i32 s26, s26, -1
	v_add_co_u32_e32 v4, vcc, s33, v4
	v_addc_co_u32_e32 v5, vcc, v5, v3, vcc
	s_cmp_gt_u32 s26, 1
	s_waitcnt vmcnt(0)
	ds_write_b64 v1, v[6:7]
	v_add_u32_e32 v1, s27, v1
	s_cbranch_scc1 .LBB22_11
; %bb.12:
	s_mov_b64 s[26:27], 0
.LBB22_13:
	s_and_b64 vcc, exec, s[26:27]
	s_cbranch_vccz .LBB22_16
; %bb.14:
	s_lshl_b64 s[26:27], s[14:15], 3
	s_add_u32 s33, s22, s26
	s_addc_u32 s34, s23, s27
	s_lshl_b64 s[26:27], s[6:7], 3
	s_add_u32 s33, s33, s26
	s_addc_u32 s34, s34, s27
	s_lshl_b64 s[26:27], s[16:17], 3
	v_add_u32_e32 v4, s28, v2
	s_add_u32 s26, s33, s26
	v_ashrrev_i32_e32 v5, 31, v4
	s_addc_u32 s27, s34, s27
	v_lshlrev_b64 v[4:5], 3, v[4:5]
	v_mov_b32_e32 v1, s27
	v_add_co_u32_e32 v4, vcc, s26, v4
	s_lshl_b64 s[26:27], s[10:11], 3
	v_addc_co_u32_e32 v5, vcc, v1, v5, vcc
	v_lshl_add_u32 v1, v2, 3, v14
	s_lshl_b32 s33, s28, 3
	v_mov_b32_e32 v3, s27
	s_mov_b32 s27, s28
.LBB22_15:                              ; =>This Inner Loop Header: Depth=1
	global_load_dwordx2 v[6:7], v[4:5], off
	s_add_i32 s27, s27, -1
	v_add_co_u32_e32 v4, vcc, s26, v4
	v_addc_co_u32_e32 v5, vcc, v5, v3, vcc
	s_cmp_eq_u32 s27, 0
	s_waitcnt vmcnt(0)
	ds_write_b64 v1, v[6:7]
	v_add_u32_e32 v1, s33, v1
	s_cbranch_scc0 .LBB22_15
.LBB22_16:
	s_or_b64 exec, exec, s[24:25]
.LBB22_17:
	s_andn2_saveexec_b64 s[18:19], s[18:19]
	s_cbranch_execz .LBB22_31
; %bb.18:
	v_pk_mov_b32 v[4:5], 0, 0
	s_and_saveexec_b64 s[24:25], s[0:1]
; %bb.19:
	s_add_u32 s26, s10, 1
	s_addc_u32 s27, s11, 0
	s_mul_i32 s27, s27, s28
	s_mul_hi_u32 s33, s26, s28
	s_add_i32 s27, s33, s27
	s_mul_i32 s26, s26, s28
	v_pk_mov_b32 v[4:5], s[26:27], s[26:27] op_sel:[0,1]
; %bb.20:
	s_or_b64 exec, exec, s[24:25]
	s_mov_b64 s[24:25], -1
	s_cmpk_lg_i32 s8, 0x7a
	v_lshlrev_b64 v[4:5], 3, v[4:5]
	s_cbranch_scc0 .LBB22_26
; %bb.21:
	s_add_i32 s26, s28, -1
	s_lshl_b32 s27, s28, 3
	s_lshl_b64 s[24:25], s[16:17], 3
	s_lshl_b64 s[34:35], s[6:7], 3
	s_add_u32 s33, s24, s34
	s_addc_u32 s34, s25, s35
	s_mul_i32 s24, s11, s26
	s_mul_hi_u32 s25, s10, s26
	s_add_i32 s25, s25, s24
	s_mul_i32 s24, s10, s26
	s_lshl_b64 s[24:25], s[24:25], 3
	s_add_u32 s33, s33, s24
	s_addc_u32 s34, s34, s25
	s_lshl_b64 s[24:25], s[14:15], 3
	s_add_u32 s24, s24, s33
	s_addc_u32 s25, s25, s34
	v_ashrrev_i32_e32 v3, 31, v2
	v_mov_b32_e32 v6, s25
	v_add_co_u32_e32 v8, vcc, s24, v4
	v_addc_co_u32_e32 v9, vcc, v6, v5, vcc
	v_lshlrev_b64 v[6:7], 3, v[2:3]
	v_add_co_u32_e32 v3, vcc, v8, v6
	s_lshl_b64 s[24:25], s[10:11], 3
	v_addc_co_u32_e32 v7, vcc, v9, v7, vcc
	s_sub_u32 s33, 0, s24
	v_sub_u32_e32 v1, s26, v2
	v_mov_b32_e32 v8, s23
	v_add_co_u32_e32 v6, vcc, s22, v3
	s_subb_u32 s24, 0, s25
	v_lshl_add_u32 v1, v1, 3, v14
	v_addc_co_u32_e32 v7, vcc, v8, v7, vcc
	v_mov_b32_e32 v3, s24
	s_branch .LBB22_23
.LBB22_22:                              ;   in Loop: Header=BB22_23 Depth=1
	s_or_b64 exec, exec, s[24:25]
	s_add_i32 s26, s26, -1
	v_add_co_u32_e32 v6, vcc, s33, v6
	s_waitcnt vmcnt(0)
	ds_write_b64 v1, v[8:9]
	v_add_u32_e32 v1, s27, v1
	s_cmp_eq_u32 s26, -1
	v_addc_co_u32_e32 v7, vcc, v7, v3, vcc
	s_cbranch_scc1 .LBB22_25
.LBB22_23:                              ; =>This Inner Loop Header: Depth=1
	v_cmp_ge_i32_e32 vcc, s26, v2
	v_pk_mov_b32 v[8:9], 0, 0
	s_and_saveexec_b64 s[24:25], vcc
	s_cbranch_execz .LBB22_22
; %bb.24:                               ;   in Loop: Header=BB22_23 Depth=1
	global_load_dwordx2 v[8:9], v[6:7], off
	s_branch .LBB22_22
.LBB22_25:
	s_mov_b64 s[24:25], 0
.LBB22_26:
	s_and_b64 vcc, exec, s[24:25]
	s_cbranch_vccz .LBB22_31
; %bb.27:
	s_lshl_b32 s24, s28, 3
	s_lshl_b64 s[16:17], s[16:17], 3
	s_lshl_b64 s[6:7], s[6:7], 3
	s_add_u32 s16, s16, s6
	s_addc_u32 s17, s17, s7
	s_lshl_b64 s[6:7], s[14:15], 3
	s_add_u32 s6, s6, s16
	s_addc_u32 s7, s7, s17
	v_ashrrev_i32_e32 v3, 31, v2
	v_mov_b32_e32 v6, s7
	v_add_co_u32_e32 v7, vcc, s6, v4
	v_addc_co_u32_e32 v6, vcc, v6, v5, vcc
	v_lshlrev_b64 v[4:5], 3, v[2:3]
	v_add_co_u32_e32 v3, vcc, v7, v4
	v_addc_co_u32_e32 v5, vcc, v6, v5, vcc
	v_mov_b32_e32 v6, s23
	v_add_co_u32_e32 v4, vcc, s22, v3
	s_lshl_b64 s[6:7], s[10:11], 3
	v_lshl_add_u32 v1, v2, 3, v14
	v_addc_co_u32_e32 v5, vcc, v6, v5, vcc
	s_mov_b32 s14, 0
	v_mov_b32_e32 v3, s7
	s_branch .LBB22_29
.LBB22_28:                              ;   in Loop: Header=BB22_29 Depth=1
	s_or_b64 exec, exec, s[10:11]
	s_add_i32 s14, s14, 1
	v_add_co_u32_e32 v4, vcc, s6, v4
	s_waitcnt vmcnt(0)
	ds_write_b64 v1, v[6:7]
	v_add_u32_e32 v1, s24, v1
	s_cmp_eq_u32 s28, s14
	v_addc_co_u32_e32 v5, vcc, v5, v3, vcc
	s_cbranch_scc1 .LBB22_31
.LBB22_29:                              ; =>This Inner Loop Header: Depth=1
	v_cmp_le_i32_e32 vcc, s14, v2
	v_pk_mov_b32 v[6:7], 0, 0
	s_and_saveexec_b64 s[10:11], vcc
	s_cbranch_execz .LBB22_28
; %bb.30:                               ;   in Loop: Header=BB22_29 Depth=1
	global_load_dwordx2 v[6:7], v[4:5], off
	s_branch .LBB22_28
.LBB22_31:
	s_or_b64 exec, exec, s[18:19]
	s_waitcnt lgkmcnt(0)
	s_barrier
	s_and_saveexec_b64 s[6:7], s[2:3]
	s_cbranch_execz .LBB22_37
; %bb.32:
	s_add_i32 s10, s28, 1
	v_mul_i32_i24_e32 v1, s10, v2
	v_mov_b32_e32 v6, 0
	s_cmpk_eq_i32 s9, 0x84
	v_lshl_add_u32 v1, v1, 3, v14
	v_mov_b32_e32 v7, 0x3ff00000
	s_cbranch_scc1 .LBB22_36
; %bb.33:
	ds_read_b64 v[4:5], v1
	v_mov_b32_e32 v6, 0
	v_mov_b32_e32 v7, 0x3ff00000
	s_waitcnt lgkmcnt(0)
	v_cmp_neq_f64_e32 vcc, 0, v[4:5]
	s_and_saveexec_b64 s[10:11], vcc
; %bb.34:
	v_div_scale_f64 v[6:7], s[14:15], v[4:5], v[4:5], 1.0
	v_rcp_f64_e32 v[8:9], v[6:7]
	v_div_scale_f64 v[10:11], vcc, 1.0, v[4:5], 1.0
	v_fma_f64 v[12:13], -v[6:7], v[8:9], 1.0
	v_fmac_f64_e32 v[8:9], v[8:9], v[12:13]
	v_fma_f64 v[12:13], -v[6:7], v[8:9], 1.0
	v_fmac_f64_e32 v[8:9], v[8:9], v[12:13]
	v_mul_f64 v[12:13], v[10:11], v[8:9]
	v_fma_f64 v[6:7], -v[6:7], v[12:13], v[10:11]
	v_div_fmas_f64 v[6:7], v[6:7], v[8:9], v[12:13]
	v_div_fixup_f64 v[6:7], v[6:7], v[4:5], 1.0
; %bb.35:
	s_or_b64 exec, exec, s[10:11]
.LBB22_36:
	ds_write_b64 v1, v[6:7]
.LBB22_37:
	s_or_b64 exec, exec, s[6:7]
	s_waitcnt lgkmcnt(0)
	s_barrier
	s_and_saveexec_b64 s[6:7], s[2:3]
	s_cbranch_execz .LBB22_49
; %bb.38:
	s_add_i32 s9, s28, 1
	v_lshlrev_b32_e32 v4, 3, v2
	v_mul_i32_i24_e32 v3, s9, v2
	s_lshl_b32 s9, s28, 3
	v_add_u32_e32 v1, v14, v4
	v_lshl_add_u32 v3, v3, 3, v14
	v_add_u32_e32 v6, 8, v14
	s_add_i32 s14, s9, 8
	v_add3_u32 v7, v4, s9, v14
	s_mov_b32 s15, 0
	s_branch .LBB22_40
.LBB22_39:                              ;   in Loop: Header=BB22_40 Depth=1
	v_add_u32_e32 v6, s14, v6
	s_cmp_eq_u32 s15, s28
	v_add_u32_e32 v7, s9, v7
	s_cbranch_scc1 .LBB22_49
.LBB22_40:                              ; =>This Loop Header: Depth=1
                                        ;     Child Loop BB22_45 Depth 2
	v_cmp_lt_i32_e32 vcc, s15, v2
	v_pk_mov_b32 v[4:5], 0, 0
	s_mul_i32 s16, s15, s28
	s_and_saveexec_b64 s[10:11], vcc
	s_cbranch_execz .LBB22_42
; %bb.41:                               ;   in Loop: Header=BB22_40 Depth=1
	s_lshl_b32 s17, s15, 3
	s_lshl_b32 s18, s16, 3
	s_add_i32 s17, s18, s17
	v_add_u32_e32 v8, s17, v14
	v_add_u32_e32 v4, s18, v1
	ds_read_b64 v[4:5], v4
	ds_read_b64 v[8:9], v8
	s_waitcnt lgkmcnt(0)
	v_fma_f64 v[4:5], v[4:5], v[8:9], 0
.LBB22_42:                              ;   in Loop: Header=BB22_40 Depth=1
	s_or_b64 exec, exec, s[10:11]
	s_add_i32 s15, s15, 1
	s_cmp_ge_u32 s15, s28
	s_cbranch_scc1 .LBB22_39
; %bb.43:                               ;   in Loop: Header=BB22_40 Depth=1
	v_lshl_add_u32 v8, s16, 3, v1
	v_mov_b32_e32 v9, v7
	v_mov_b32_e32 v10, v6
	s_mov_b32 s16, s15
	s_branch .LBB22_45
.LBB22_44:                              ;   in Loop: Header=BB22_45 Depth=2
	s_or_b64 exec, exec, s[10:11]
	s_add_i32 s16, s16, 1
	v_add_u32_e32 v10, 8, v10
	s_cmp_ge_u32 s16, s28
	v_add_u32_e32 v9, s9, v9
	s_cbranch_scc1 .LBB22_39
.LBB22_45:                              ;   Parent Loop BB22_40 Depth=1
                                        ; =>  This Inner Loop Header: Depth=2
	v_cmp_eq_u32_e32 vcc, s16, v2
	s_and_saveexec_b64 s[10:11], vcc
	s_cbranch_execz .LBB22_47
; %bb.46:                               ;   in Loop: Header=BB22_45 Depth=2
	ds_read_b64 v[12:13], v3
	v_add_f64 v[16:17], -v[4:5], 0
	s_waitcnt lgkmcnt(0)
	v_mul_f64 v[12:13], v[16:17], v[12:13]
	ds_write_b64 v8, v[12:13]
.LBB22_47:                              ;   in Loop: Header=BB22_45 Depth=2
	s_or_b64 exec, exec, s[10:11]
	v_cmp_lt_i32_e32 vcc, s16, v2
	s_and_saveexec_b64 s[10:11], vcc
	s_cbranch_execz .LBB22_44
; %bb.48:                               ;   in Loop: Header=BB22_45 Depth=2
	ds_read_b64 v[12:13], v9
	ds_read_b64 v[16:17], v10
	s_waitcnt lgkmcnt(0)
	v_fmac_f64_e32 v[4:5], v[12:13], v[16:17]
	s_branch .LBB22_44
.LBB22_49:
	s_or_b64 exec, exec, s[6:7]
	s_and_b32 s6, s28, 0xffff
	v_cvt_f32_u32_e32 v1, s6
	v_cvt_f32_ubyte0_e32 v3, v0
	s_cmpk_lg_i32 s8, 0x7a
	s_cselect_b64 s[8:9], -1, 0
	v_rcp_iflag_f32_e32 v4, v1
	s_mul_i32 s6, s28, s28
	v_cmp_gt_u32_e64 s[6:7], s6, v0
	s_waitcnt lgkmcnt(0)
	v_mul_f32_e32 v4, v3, v4
	v_trunc_f32_e32 v4, v4
	v_cvt_u32_f32_e32 v5, v4
	v_mad_f32 v3, -v4, v1, v3
	v_cmp_ge_f32_e64 vcc, |v3|, v1
	s_barrier
	v_addc_co_u32_e32 v1, vcc, 0, v5, vcc
	v_and_b32_e32 v5, 0xffff, v1
	v_mul_lo_u16_e32 v1, s28, v1
	v_sub_u16_e32 v3, v0, v1
	s_and_b64 vcc, exec, s[8:9]
	s_cbranch_vccz .LBB22_61
; %bb.50:
	s_mov_b64 s[10:11], 0
	s_mov_b64 s[16:17], 0
                                        ; implicit-def: $vgpr0_vgpr1
                                        ; implicit-def: $vgpr4
	s_and_saveexec_b64 s[14:15], s[6:7]
	s_cbranch_execz .LBB22_60
; %bb.51:
	v_add_u32_e32 v7, 1, v5
	v_cmp_lt_u16_e32 vcc, 6, v5
	v_pk_mov_b32 v[0:1], 0, 0
	v_mov_b32_e32 v4, 0
	v_lshlrev_b32_e32 v6, 7, v5
	s_and_saveexec_b64 s[16:17], vcc
	s_cbranch_execz .LBB22_55
; %bb.52:
	v_and_b32_e32 v4, 0x7f8, v7
	v_lshlrev_b32_e32 v8, 3, v3
	v_sub_u32_e32 v9, 0x1fc0, v6
	s_mov_b32 s22, 0
	s_mov_b64 s[18:19], 0
	v_pk_mov_b32 v[0:1], 0, 0
.LBB22_53:                              ; =>This Inner Loop Header: Depth=1
	ds_read2_b64 v[10:13], v8 offset1:16
	ds_read_b128 v[16:19], v9
	ds_read_b128 v[20:23], v9 offset:16
	ds_read_b128 v[24:27], v9 offset:32
	;; [unrolled: 1-line block ×3, first 2 shown]
	ds_read2_b64 v[32:35], v8 offset0:32 offset1:48
	ds_read2_b64 v[36:39], v8 offset0:64 offset1:80
	ds_read2_b64 v[40:43], v8 offset0:96 offset1:112
	s_add_i32 s22, s22, 8
	s_waitcnt lgkmcnt(3)
	v_fmac_f64_e32 v[0:1], v[10:11], v[30:31]
	v_fmac_f64_e32 v[0:1], v[12:13], v[28:29]
	s_waitcnt lgkmcnt(2)
	v_fmac_f64_e32 v[0:1], v[32:33], v[26:27]
	v_fmac_f64_e32 v[0:1], v[34:35], v[24:25]
	;; [unrolled: 3-line block ×3, first 2 shown]
	v_cmp_eq_u32_e32 vcc, s22, v4
	s_waitcnt lgkmcnt(0)
	v_fmac_f64_e32 v[0:1], v[40:41], v[18:19]
	v_add_u32_e32 v8, 0x400, v8
	v_subrev_u32_e32 v9, 64, v9
	s_or_b64 s[18:19], vcc, s[18:19]
	v_fmac_f64_e32 v[0:1], v[42:43], v[16:17]
	s_andn2_b64 exec, exec, s[18:19]
	s_cbranch_execnz .LBB22_53
; %bb.54:
	s_or_b64 exec, exec, s[18:19]
.LBB22_55:
	s_or_b64 exec, exec, s[16:17]
	v_and_b32_e32 v7, 7, v7
	v_cmp_ne_u32_e32 vcc, 0, v7
	s_and_saveexec_b64 s[16:17], vcc
	s_cbranch_execz .LBB22_59
; %bb.56:
	v_lshl_add_u32 v6, v4, 3, v6
	v_lshlrev_b32_e32 v8, 3, v3
	v_sub_u32_e32 v6, 0x1ff8, v6
	v_lshl_add_u32 v4, v4, 7, v8
	s_mov_b64 s[18:19], 0
.LBB22_57:                              ; =>This Inner Loop Header: Depth=1
	ds_read_b64 v[8:9], v4
	ds_read_b64 v[10:11], v6
	v_add_u32_e32 v7, -1, v7
	v_cmp_eq_u32_e32 vcc, 0, v7
	v_add_u32_e32 v6, -8, v6
	v_add_u32_e32 v4, 0x80, v4
	s_or_b64 s[18:19], vcc, s[18:19]
	s_waitcnt lgkmcnt(0)
	v_fmac_f64_e32 v[0:1], v[8:9], v[10:11]
	s_andn2_b64 exec, exec, s[18:19]
	s_cbranch_execnz .LBB22_57
; %bb.58:
	s_or_b64 exec, exec, s[18:19]
.LBB22_59:
	s_or_b64 exec, exec, s[16:17]
	s_mov_b64 s[16:17], exec
	v_lshlrev_b32_e32 v4, 4, v5
.LBB22_60:
	s_or_b64 exec, exec, s[14:15]
	s_and_b64 vcc, exec, s[10:11]
	s_cbranch_vccnz .LBB22_62
	s_branch .LBB22_69
.LBB22_61:
	s_mov_b64 s[16:17], 0
                                        ; implicit-def: $vgpr0_vgpr1
                                        ; implicit-def: $vgpr4
	s_cbranch_execz .LBB22_69
.LBB22_62:
                                        ; implicit-def: $vgpr0_vgpr1
                                        ; implicit-def: $vgpr4
	s_and_saveexec_b64 s[10:11], s[6:7]
	s_cbranch_execz .LBB22_68
; %bb.63:
	v_cmp_gt_u16_e32 vcc, 16, v5
	v_pk_mov_b32 v[0:1], 0, 0
	s_and_saveexec_b64 s[14:15], vcc
	s_cbranch_execz .LBB22_67
; %bb.64:
	v_lshlrev_b32_e32 v0, 3, v3
	v_lshl_add_u32 v4, v5, 7, v0
	s_movk_i32 s18, 0x88
	v_mov_b32_e32 v0, 0x1000
	v_add_u32_e32 v6, -1, v5
	v_mad_u32_u24 v7, v5, s18, v0
	s_mov_b64 s[18:19], 0
	v_pk_mov_b32 v[0:1], 0, 0
.LBB22_65:                              ; =>This Inner Loop Header: Depth=1
	ds_read_b64 v[8:9], v4
	ds_read_b64 v[10:11], v7
	v_add_u32_e32 v6, 1, v6
	v_cmp_lt_u32_e32 vcc, 14, v6
	v_add_u32_e32 v4, 0x80, v4
	v_add_u32_e32 v7, 8, v7
	s_or_b64 s[18:19], vcc, s[18:19]
	s_waitcnt lgkmcnt(0)
	v_fmac_f64_e32 v[0:1], v[8:9], v[10:11]
	s_andn2_b64 exec, exec, s[18:19]
	s_cbranch_execnz .LBB22_65
; %bb.66:
	s_or_b64 exec, exec, s[18:19]
.LBB22_67:
	s_or_b64 exec, exec, s[14:15]
	v_lshlrev_b32_e32 v4, 4, v5
	s_or_b64 s[16:17], s[16:17], exec
.LBB22_68:
	s_or_b64 exec, exec, s[10:11]
.LBB22_69:
	s_and_saveexec_b64 s[10:11], s[16:17]
	s_cbranch_execz .LBB22_71
; %bb.70:
	v_add_lshl_u32 v4, v4, v3, 3
	ds_write_b64 v4, v[0:1] offset:2048
.LBB22_71:
	s_or_b64 exec, exec, s[10:11]
	s_load_dword s10, s[4:5], 0x48
	s_load_dwordx2 s[16:17], s[4:5], 0x58
	s_lshl_b64 s[4:5], s[20:21], 3
	s_waitcnt lgkmcnt(0)
	s_barrier
	s_ashr_i32 s11, s10, 31
	s_add_u32 s18, s12, s4
	s_addc_u32 s19, s13, s5
	s_lshl_b64 s[14:15], s[10:11], 5
	s_add_u32 s14, s14, 32
	s_addc_u32 s15, s15, 0
	s_mul_hi_u32 s20, s14, s31
	s_mul_i32 s15, s15, s31
	s_add_i32 s15, s20, s15
	s_mul_i32 s14, s14, s31
	s_lshl_b64 s[14:15], s[14:15], 3
	s_add_u32 s18, s18, s14
	s_mul_i32 s17, s30, s17
	s_mul_hi_u32 s20, s30, s16
	s_addc_u32 s19, s19, s15
	s_add_i32 s17, s20, s17
	s_mul_i32 s16, s30, s16
	s_lshl_b64 s[16:17], s[16:17], 3
	s_add_u32 s22, s18, s16
	s_addc_u32 s23, s19, s17
	s_mov_b64 s[18:19], -1
	s_and_b64 vcc, exec, s[8:9]
	s_cbranch_vccnz .LBB22_74
; %bb.72:
	s_andn2_b64 vcc, exec, s[18:19]
	s_cbranch_vccz .LBB22_79
.LBB22_73:
	s_and_saveexec_b64 s[6:7], s[2:3]
	s_cbranch_execnz .LBB22_90
	s_branch .LBB22_101
.LBB22_74:
	s_and_saveexec_b64 s[18:19], s[6:7]
	s_cbranch_execz .LBB22_78
; %bb.75:
	v_mad_u32_u24 v0, s28, v5, v3
	v_mov_b32_e32 v1, 0x800
	v_lshl_add_u32 v7, v0, 3, v1
	v_sub_u32_e32 v0, s28, v3
	v_mul_i32_i24_e32 v0, s28, v0
	v_lshlrev_b32_e32 v0, 3, v0
	v_lshlrev_b32_e32 v4, 3, v3
	v_sub_u32_e32 v0, v0, v4
	s_lshl_b32 s20, s28, 3
	v_add_u32_e32 v6, -1, v3
	v_add_u32_e32 v8, 0xff8, v0
	s_sub_i32 s24, 0, s20
	s_mov_b64 s[20:21], 0
	v_pk_mov_b32 v[0:1], 0, 0
.LBB22_76:                              ; =>This Inner Loop Header: Depth=1
	ds_read_b64 v[10:11], v8
	ds_read_b64 v[12:13], v7
	v_add_u32_e32 v6, 1, v6
	v_cmp_lt_u32_e32 vcc, 14, v6
	v_add_u32_e32 v7, 8, v7
	v_add_u32_e32 v8, s24, v8
	s_or_b64 s[20:21], vcc, s[20:21]
	s_waitcnt lgkmcnt(0)
	v_fma_f64 v[0:1], -v[10:11], v[12:13], v[0:1]
	s_andn2_b64 exec, exec, s[20:21]
	s_cbranch_execnz .LBB22_76
; %bb.77:
	s_or_b64 exec, exec, s[20:21]
	s_mul_hi_i32 s21, s28, s10
	s_mul_i32 s20, s28, s10
	s_lshl_b64 s[20:21], s[20:21], 3
	s_add_u32 s20, s22, s20
	s_addc_u32 s21, s23, s21
	v_mad_i64_i32 v[6:7], s[24:25], v5, s10, 0
	v_mov_b32_e32 v8, s21
	v_add_co_u32_e32 v4, vcc, s20, v4
	v_addc_co_u32_e32 v8, vcc, 0, v8, vcc
	v_lshlrev_b64 v[6:7], 3, v[6:7]
	v_add_co_u32_e32 v6, vcc, v4, v6
	v_addc_co_u32_e32 v7, vcc, v8, v7, vcc
	global_store_dwordx2 v[6:7], v[0:1], off
.LBB22_78:
	s_or_b64 exec, exec, s[18:19]
	s_cbranch_execnz .LBB22_73
.LBB22_79:
	s_and_saveexec_b64 s[18:19], s[6:7]
	s_cbranch_execz .LBB22_89
; %bb.80:
	v_mul_u32_u24_e32 v15, s28, v5
	v_add_u32_e32 v17, 1, v3
	v_cmp_lt_u16_e32 vcc, 6, v3
	v_pk_mov_b32 v[0:1], 0, 0
	v_mov_b32_e32 v16, 0
	s_and_saveexec_b64 s[6:7], vcc
	s_cbranch_execz .LBB22_84
; %bb.81:
	v_mov_b32_e32 v0, 0x800
	v_lshl_add_u32 v18, v15, 3, v0
	v_mov_b32_e32 v0, 0x1800
	v_lshl_add_u32 v4, v3, 3, v0
	v_mad_u64_u32 v[6:7], s[20:21], s28, 24, v[4:5]
	v_mad_u64_u32 v[8:9], s[20:21], s28, 40, v[4:5]
	;; [unrolled: 1-line block ×4, first 2 shown]
	v_and_b32_e32 v16, 56, v17
	v_lshl_add_u32 v19, s28, 3, v4
	s_lshl_b32 s24, s28, 6
	v_lshl_add_u32 v20, s28, 4, v4
	v_lshl_add_u32 v7, s28, 5, v4
	s_mov_b32 s25, 0
	s_mov_b64 s[20:21], 0
	v_pk_mov_b32 v[0:1], 0, 0
.LBB22_82:                              ; =>This Inner Loop Header: Depth=1
	ds_read_b64 v[38:39], v4
	ds_read2_b64 v[22:25], v18 offset1:1
	ds_read2_b64 v[26:29], v18 offset0:2 offset1:3
	ds_read_b64 v[40:41], v19
	ds_read_b64 v[42:43], v20
	;; [unrolled: 1-line block ×3, first 2 shown]
	ds_read2_b64 v[30:33], v18 offset0:4 offset1:5
	ds_read2_b64 v[34:37], v18 offset0:6 offset1:7
	ds_read_b64 v[46:47], v6
	ds_read_b64 v[48:49], v8
	;; [unrolled: 1-line block ×4, first 2 shown]
	s_waitcnt lgkmcnt(10)
	v_fma_f64 v[0:1], -v[38:39], v[22:23], v[0:1]
	s_waitcnt lgkmcnt(8)
	v_fma_f64 v[0:1], -v[40:41], v[24:25], v[0:1]
	;; [unrolled: 2-line block ×4, first 2 shown]
	v_fma_f64 v[0:1], -v[44:45], v[30:31], v[0:1]
	s_add_i32 s25, s25, 8
	s_waitcnt lgkmcnt(2)
	v_fma_f64 v[0:1], -v[48:49], v[32:33], v[0:1]
	v_cmp_eq_u32_e32 vcc, s25, v16
	s_waitcnt lgkmcnt(1)
	v_fma_f64 v[0:1], -v[50:51], v[34:35], v[0:1]
	v_add_u32_e32 v18, 64, v18
	v_add_u32_e32 v19, s24, v19
	;; [unrolled: 1-line block ×9, first 2 shown]
	s_or_b64 s[20:21], vcc, s[20:21]
	s_waitcnt lgkmcnt(0)
	v_fma_f64 v[0:1], -v[52:53], v[36:37], v[0:1]
	s_andn2_b64 exec, exec, s[20:21]
	s_cbranch_execnz .LBB22_82
; %bb.83:
	s_or_b64 exec, exec, s[20:21]
.LBB22_84:
	s_or_b64 exec, exec, s[6:7]
	v_and_b32_e32 v4, 7, v17
	v_cmp_ne_u32_e32 vcc, 0, v4
	s_and_saveexec_b64 s[6:7], vcc
	s_cbranch_execz .LBB22_88
; %bb.85:
	v_add_u32_e32 v6, v15, v16
	v_mov_b32_e32 v7, 0x800
	v_lshl_add_u32 v6, v6, 3, v7
	v_mad_u32_u24 v7, v16, s28, v3
	v_mov_b32_e32 v8, 0x1800
	v_lshl_add_u32 v7, v7, 3, v8
	s_lshl_b32 s24, s28, 3
	s_mov_b64 s[20:21], 0
.LBB22_86:                              ; =>This Inner Loop Header: Depth=1
	ds_read_b64 v[8:9], v7
	ds_read_b64 v[10:11], v6
	v_add_u32_e32 v4, -1, v4
	v_cmp_eq_u32_e32 vcc, 0, v4
	v_add_u32_e32 v6, 8, v6
	v_add_u32_e32 v7, s24, v7
	s_or_b64 s[20:21], vcc, s[20:21]
	s_waitcnt lgkmcnt(0)
	v_fma_f64 v[0:1], -v[8:9], v[10:11], v[0:1]
	s_andn2_b64 exec, exec, s[20:21]
	s_cbranch_execnz .LBB22_86
; %bb.87:
	s_or_b64 exec, exec, s[20:21]
.LBB22_88:
	s_or_b64 exec, exec, s[6:7]
	v_mad_i64_i32 v[4:5], s[6:7], v5, s10, 0
	v_lshlrev_b64 v[4:5], 3, v[4:5]
	v_mov_b32_e32 v6, s23
	v_add_co_u32_e32 v4, vcc, s22, v4
	v_addc_co_u32_e32 v5, vcc, v6, v5, vcc
	v_add_lshl_u32 v3, s28, v3, 3
	v_add_co_u32_e32 v4, vcc, v4, v3
	v_addc_co_u32_e32 v5, vcc, 0, v5, vcc
	global_store_dwordx2 v[4:5], v[0:1], off
.LBB22_89:
	s_or_b64 exec, exec, s[18:19]
	s_and_saveexec_b64 s[6:7], s[2:3]
	s_cbranch_execz .LBB22_101
.LBB22_90:
	v_pk_mov_b32 v[0:1], 0, 0
	s_and_saveexec_b64 s[2:3], s[0:1]
	s_cbranch_execnz .LBB22_93
; %bb.91:
	s_or_b64 exec, exec, s[2:3]
	s_mov_b64 s[0:1], -1
	s_and_b64 vcc, exec, s[8:9]
	s_cbranch_vccnz .LBB22_94
.LBB22_92:
	s_andn2_b64 vcc, exec, s[0:1]
	s_cbranch_vccz .LBB22_98
	s_branch .LBB22_101
.LBB22_93:
	s_add_u32 s0, s10, 1
	s_addc_u32 s1, s11, 0
	s_mul_i32 s1, s1, s28
	s_mul_hi_u32 s6, s0, s28
	s_add_i32 s1, s6, s1
	s_mul_i32 s0, s0, s28
	v_pk_mov_b32 v[0:1], s[0:1], s[0:1] op_sel:[0,1]
	s_or_b64 exec, exec, s[2:3]
	s_mov_b64 s[0:1], -1
	s_and_b64 vcc, exec, s[8:9]
	s_cbranch_vccz .LBB22_92
.LBB22_94:
	v_cmp_gt_i32_e32 vcc, s28, v2
	s_and_saveexec_b64 s[0:1], vcc
	s_cbranch_execz .LBB22_97
; %bb.95:
	s_cmp_lt_u32 s29, 16
	s_cselect_b32 s3, s29, 16
	s_cselect_b32 s2, 0, 0
	s_add_u32 s6, s3, -1
	s_addc_u32 s2, s2, -1
	s_mul_i32 s3, s6, s11
	s_mul_hi_u32 s7, s6, s10
	s_add_i32 s3, s7, s3
	s_mul_i32 s2, s2, s10
	s_add_i32 s3, s3, s2
	s_mul_i32 s2, s6, s10
	s_lshl_b64 s[2:3], s[2:3], 3
	s_add_u32 s2, s2, s16
	s_addc_u32 s3, s3, s17
	s_add_u32 s2, s2, s14
	s_addc_u32 s3, s3, s15
	s_add_u32 s2, s4, s2
	v_xad_u32 v3, v2, -1, s28
	v_lshlrev_b64 v[4:5], 3, v[0:1]
	s_addc_u32 s3, s5, s3
	v_lshl_add_u32 v6, v3, 3, v14
	v_ashrrev_i32_e32 v3, 31, v2
	v_mov_b32_e32 v7, s3
	v_add_co_u32_e32 v8, vcc, s2, v4
	v_addc_co_u32_e32 v7, vcc, v7, v5, vcc
	v_lshlrev_b64 v[4:5], 3, v[2:3]
	v_add_co_u32_e32 v3, vcc, v8, v4
	s_lshl_b64 s[4:5], s[10:11], 3
	v_addc_co_u32_e32 v5, vcc, v7, v5, vcc
	s_sub_u32 s4, 0, s4
	v_mov_b32_e32 v7, s13
	v_add_co_u32_e32 v4, vcc, s12, v3
	s_subb_u32 s6, 0, s5
	v_addc_co_u32_e32 v5, vcc, v7, v5, vcc
	s_mov_b64 s[2:3], 0
	s_lshl_b32 s5, s28, 3
	v_mov_b32_e32 v3, s6
	s_mov_b32 s6, s28
.LBB22_96:                              ; =>This Inner Loop Header: Depth=1
	ds_read_b64 v[8:9], v6
	s_add_i32 s6, s6, -1
	v_cmp_le_i32_e32 vcc, s6, v2
	s_or_b64 s[2:3], vcc, s[2:3]
	v_add_u32_e32 v6, s5, v6
	s_waitcnt lgkmcnt(0)
	global_store_dwordx2 v[4:5], v[8:9], off
	v_add_co_u32_e32 v4, vcc, s4, v4
	v_addc_co_u32_e32 v5, vcc, v5, v3, vcc
	s_andn2_b64 exec, exec, s[2:3]
	s_cbranch_execnz .LBB22_96
.LBB22_97:
	s_or_b64 exec, exec, s[0:1]
	s_cbranch_execnz .LBB22_101
.LBB22_98:
	v_cmp_lt_i32_e32 vcc, -1, v2
	s_and_b64 exec, exec, vcc
	s_cbranch_execz .LBB22_101
; %bb.99:
	v_lshlrev_b64 v[0:1], 3, v[0:1]
	v_mov_b32_e32 v3, 0
	v_mov_b32_e32 v5, s23
	v_add_co_u32_e32 v6, vcc, s22, v0
	v_addc_co_u32_e32 v5, vcc, v5, v1, vcc
	v_lshlrev_b64 v[0:1], 3, v[2:3]
	v_add_co_u32_e32 v0, vcc, v6, v0
	s_lshl_b64 s[0:1], s[10:11], 3
	v_lshl_add_u32 v4, v2, 3, v14
	v_addc_co_u32_e32 v1, vcc, v5, v1, vcc
	v_add_u32_e32 v2, 1, v2
	s_lshl_b32 s4, s28, 3
	s_mov_b64 s[2:3], 0
	v_mov_b32_e32 v3, s1
.LBB22_100:                             ; =>This Inner Loop Header: Depth=1
	ds_read_b64 v[6:7], v4
	v_add_u32_e32 v2, -1, v2
	v_cmp_eq_u32_e32 vcc, 0, v2
	s_or_b64 s[2:3], vcc, s[2:3]
	v_add_u32_e32 v4, s4, v4
	s_waitcnt lgkmcnt(0)
	global_store_dwordx2 v[0:1], v[6:7], off
	v_add_co_u32_e32 v0, vcc, s0, v0
	v_addc_co_u32_e32 v1, vcc, v1, v3, vcc
	s_andn2_b64 exec, exec, s[2:3]
	s_cbranch_execnz .LBB22_100
.LBB22_101:
	s_endpgm
	.section	.rodata,"a",@progbits
	.p2align	6, 0x0
	.amdhsa_kernel _ZL29rocblas_trtri_diagonal_kernelILi16EdPKPKdPKPdEv13rocblas_fill_17rocblas_diagonal_iT1_lillT2_lilli
		.amdhsa_group_segment_fixed_size 8192
		.amdhsa_private_segment_fixed_size 0
		.amdhsa_kernarg_size 100
		.amdhsa_user_sgpr_count 6
		.amdhsa_user_sgpr_private_segment_buffer 1
		.amdhsa_user_sgpr_dispatch_ptr 0
		.amdhsa_user_sgpr_queue_ptr 0
		.amdhsa_user_sgpr_kernarg_segment_ptr 1
		.amdhsa_user_sgpr_dispatch_id 0
		.amdhsa_user_sgpr_flat_scratch_init 0
		.amdhsa_user_sgpr_kernarg_preload_length 0
		.amdhsa_user_sgpr_kernarg_preload_offset 0
		.amdhsa_user_sgpr_private_segment_size 0
		.amdhsa_uses_dynamic_stack 0
		.amdhsa_system_sgpr_private_segment_wavefront_offset 0
		.amdhsa_system_sgpr_workgroup_id_x 1
		.amdhsa_system_sgpr_workgroup_id_y 0
		.amdhsa_system_sgpr_workgroup_id_z 1
		.amdhsa_system_sgpr_workgroup_info 0
		.amdhsa_system_vgpr_workitem_id 0
		.amdhsa_next_free_vgpr 54
		.amdhsa_next_free_sgpr 40
		.amdhsa_accum_offset 56
		.amdhsa_reserve_vcc 1
		.amdhsa_reserve_flat_scratch 0
		.amdhsa_float_round_mode_32 0
		.amdhsa_float_round_mode_16_64 0
		.amdhsa_float_denorm_mode_32 3
		.amdhsa_float_denorm_mode_16_64 3
		.amdhsa_dx10_clamp 1
		.amdhsa_ieee_mode 1
		.amdhsa_fp16_overflow 0
		.amdhsa_tg_split 0
		.amdhsa_exception_fp_ieee_invalid_op 0
		.amdhsa_exception_fp_denorm_src 0
		.amdhsa_exception_fp_ieee_div_zero 0
		.amdhsa_exception_fp_ieee_overflow 0
		.amdhsa_exception_fp_ieee_underflow 0
		.amdhsa_exception_fp_ieee_inexact 0
		.amdhsa_exception_int_div_zero 0
	.end_amdhsa_kernel
	.section	.text._ZL29rocblas_trtri_diagonal_kernelILi16EdPKPKdPKPdEv13rocblas_fill_17rocblas_diagonal_iT1_lillT2_lilli,"axG",@progbits,_ZL29rocblas_trtri_diagonal_kernelILi16EdPKPKdPKPdEv13rocblas_fill_17rocblas_diagonal_iT1_lillT2_lilli,comdat
.Lfunc_end22:
	.size	_ZL29rocblas_trtri_diagonal_kernelILi16EdPKPKdPKPdEv13rocblas_fill_17rocblas_diagonal_iT1_lillT2_lilli, .Lfunc_end22-_ZL29rocblas_trtri_diagonal_kernelILi16EdPKPKdPKPdEv13rocblas_fill_17rocblas_diagonal_iT1_lillT2_lilli
                                        ; -- End function
	.section	.AMDGPU.csdata,"",@progbits
; Kernel info:
; codeLenInByte = 3824
; NumSgprs: 44
; NumVgprs: 54
; NumAgprs: 0
; TotalNumVgprs: 54
; ScratchSize: 0
; MemoryBound: 0
; FloatMode: 240
; IeeeMode: 1
; LDSByteSize: 8192 bytes/workgroup (compile time only)
; SGPRBlocks: 5
; VGPRBlocks: 6
; NumSGPRsForWavesPerEU: 44
; NumVGPRsForWavesPerEU: 54
; AccumOffset: 56
; Occupancy: 8
; WaveLimiterHint : 1
; COMPUTE_PGM_RSRC2:SCRATCH_EN: 0
; COMPUTE_PGM_RSRC2:USER_SGPR: 6
; COMPUTE_PGM_RSRC2:TRAP_HANDLER: 0
; COMPUTE_PGM_RSRC2:TGID_X_EN: 1
; COMPUTE_PGM_RSRC2:TGID_Y_EN: 0
; COMPUTE_PGM_RSRC2:TGID_Z_EN: 1
; COMPUTE_PGM_RSRC2:TIDIG_COMP_CNT: 0
; COMPUTE_PGM_RSRC3_GFX90A:ACCUM_OFFSET: 13
; COMPUTE_PGM_RSRC3_GFX90A:TG_SPLIT: 0
	.section	.text._ZL30rocblas_trtri_remainder_kernelILi16EdPKPKdPKPdEv13rocblas_fill_17rocblas_diagonal_iT1_lillT2_lilli,"axG",@progbits,_ZL30rocblas_trtri_remainder_kernelILi16EdPKPKdPKPdEv13rocblas_fill_17rocblas_diagonal_iT1_lillT2_lilli,comdat
	.globl	_ZL30rocblas_trtri_remainder_kernelILi16EdPKPKdPKPdEv13rocblas_fill_17rocblas_diagonal_iT1_lillT2_lilli ; -- Begin function _ZL30rocblas_trtri_remainder_kernelILi16EdPKPKdPKPdEv13rocblas_fill_17rocblas_diagonal_iT1_lillT2_lilli
	.p2align	8
	.type	_ZL30rocblas_trtri_remainder_kernelILi16EdPKPKdPKPdEv13rocblas_fill_17rocblas_diagonal_iT1_lillT2_lilli,@function
_ZL30rocblas_trtri_remainder_kernelILi16EdPKPKdPKPdEv13rocblas_fill_17rocblas_diagonal_iT1_lillT2_lilli: ; @_ZL30rocblas_trtri_remainder_kernelILi16EdPKPKdPKPdEv13rocblas_fill_17rocblas_diagonal_iT1_lillT2_lilli
; %bb.0:
	s_load_dwordx4 s[8:11], s[4:5], 0x0
	s_waitcnt lgkmcnt(0)
	s_cmp_lt_i32 s10, 1
	s_cbranch_scc1 .LBB23_46
; %bb.1:
	s_load_dwordx4 s[16:19], s[4:5], 0x30
	s_load_dwordx2 s[20:21], s[4:5], 0x40
	s_mov_b32 s0, s7
	s_mov_b32 s1, 0
	s_lshl_b64 s[26:27], s[0:1], 3
	s_waitcnt lgkmcnt(0)
	s_add_u32 s0, s18, s26
	s_addc_u32 s1, s19, s27
	s_load_dwordx2 s[18:19], s[0:1], 0x0
	v_cmp_le_u32_e64 s[2:3], s10, v0
	v_cmp_gt_u32_e64 s[0:1], s10, v0
	s_and_saveexec_b64 s[22:23], s[0:1]
	s_cbranch_execz .LBB23_14
; %bb.2:
	s_load_dwordx4 s[12:15], s[4:5], 0x10
	s_load_dword s24, s[4:5], 0x20
	s_mul_i32 s7, s6, s17
	s_mul_hi_u32 s11, s6, s16
	s_mul_i32 s16, s6, s16
	s_waitcnt lgkmcnt(0)
	s_add_u32 s12, s12, s26
	s_addc_u32 s13, s13, s27
	s_load_dwordx2 s[12:13], s[12:13], 0x0
	s_add_i32 s17, s11, s7
	s_cmpk_lg_i32 s8, 0x7a
	s_mov_b64 s[26:27], -1
	s_cbranch_scc0 .LBB23_6
; %bb.3:
	s_ashr_i32 s25, s24, 31
	s_lshl_b32 s7, s10, 3
	s_ashr_i32 s11, s10, 31
	s_add_u32 s26, s10, -1
	s_addc_u32 s11, s11, -1
	s_mul_i32 s27, s26, s25
	s_mul_hi_u32 s28, s26, s24
	s_add_i32 s27, s28, s27
	s_mul_i32 s11, s11, s24
	s_add_i32 s27, s27, s11
	s_mul_i32 s26, s26, s24
	s_lshl_b64 s[26:27], s[26:27], 3
	s_lshl_b64 s[28:29], s[16:17], 3
	s_add_u32 s11, s26, s28
	s_addc_u32 s28, s27, s29
	s_lshl_b64 s[26:27], s[14:15], 3
	s_add_u32 s11, s11, s26
	s_addc_u32 s26, s28, s27
	s_waitcnt lgkmcnt(0)
	s_add_u32 s11, s12, s11
	v_lshlrev_b32_e32 v2, 3, v0
	s_addc_u32 s26, s13, s26
	s_lshl_b64 s[28:29], s[24:25], 3
	v_sub_u32_e32 v1, s7, v2
	v_add_co_u32_e32 v2, vcc, s11, v2
	s_sub_u32 s11, 0, s28
	v_mov_b32_e32 v3, s26
	s_subb_u32 s25, 0, s29
	v_add_u32_e32 v1, -8, v1
	v_addc_co_u32_e32 v3, vcc, 0, v3, vcc
	s_mov_b64 s[26:27], 0
	v_mov_b32_e32 v4, s25
	s_mov_b32 s25, s10
.LBB23_4:                               ; =>This Inner Loop Header: Depth=1
	global_load_dwordx2 v[6:7], v[2:3], off
	v_add_co_u32_e32 v2, vcc, s11, v2
	s_add_i32 s25, s25, -1
	v_addc_co_u32_e32 v3, vcc, v3, v4, vcc
	v_cmp_le_i32_e32 vcc, s25, v0
	s_or_b64 s[26:27], vcc, s[26:27]
	s_waitcnt vmcnt(0)
	ds_write_b64 v1, v[6:7]
	v_add_u32_e32 v1, s7, v1
	s_andn2_b64 exec, exec, s[26:27]
	s_cbranch_execnz .LBB23_4
; %bb.5:
	s_or_b64 exec, exec, s[26:27]
	s_mov_b64 s[26:27], 0
.LBB23_6:
	s_and_b64 vcc, exec, s[26:27]
	s_cbranch_vccz .LBB23_14
; %bb.7:
	v_mov_b32_e32 v1, 0
	s_ashr_i32 s25, s24, 31
	v_add_u32_e32 v4, 1, v0
	v_cmp_lt_u32_e32 vcc, 2, v0
	s_and_saveexec_b64 s[26:27], vcc
	s_cbranch_execz .LBB23_11
; %bb.8:
	s_lshl_b64 s[28:29], s[14:15], 3
	s_waitcnt lgkmcnt(0)
	s_add_u32 s7, s12, s28
	s_addc_u32 s11, s13, s29
	s_lshl_b64 s[28:29], s[16:17], 3
	s_add_u32 s7, s7, s28
	s_addc_u32 s11, s11, s29
	v_lshlrev_b32_e32 v5, 3, v0
	v_mov_b32_e32 v1, s11
	v_add_co_u32_e32 v2, vcc, s7, v5
	s_mul_hi_i32 s41, s24, 24
	s_lshl_b64 s[28:29], s[24:25], 5
	s_lshl_b64 s[30:31], s[24:25], 4
	;; [unrolled: 1-line block ×3, first 2 shown]
	v_addc_co_u32_e32 v3, vcc, 0, v1, vcc
	v_and_b32_e32 v1, 0x7fc, v4
	s_mul_i32 s7, s24, 24
	s_lshl_b32 s11, s10, 3
	s_lshl_b32 s33, s10, 5
	;; [unrolled: 1-line block ×3, first 2 shown]
	s_mul_i32 s39, s10, 24
	s_mov_b32 s40, 0
	s_mov_b64 s[36:37], 0
	v_mov_b32_e32 v6, s35
	v_mov_b32_e32 v7, s31
	;; [unrolled: 1-line block ×4, first 2 shown]
.LBB23_9:                               ; =>This Inner Loop Header: Depth=1
	v_add_co_u32_e32 v12, vcc, s34, v2
	v_addc_co_u32_e32 v13, vcc, v3, v6, vcc
	v_add_co_u32_e32 v14, vcc, s30, v2
	v_addc_co_u32_e32 v15, vcc, v3, v7, vcc
	global_load_dwordx2 v[10:11], v[2:3], off
	v_add_co_u32_e32 v16, vcc, s7, v2
	v_addc_co_u32_e32 v17, vcc, v3, v8, vcc
	global_load_dwordx2 v[18:19], v[12:13], off
	global_load_dwordx2 v[20:21], v[14:15], off
	;; [unrolled: 1-line block ×3, first 2 shown]
	v_add_co_u32_e32 v2, vcc, s28, v2
	s_add_i32 s40, s40, 4
	v_addc_co_u32_e32 v3, vcc, v3, v9, vcc
	v_cmp_eq_u32_e32 vcc, s40, v1
	v_add_u32_e32 v12, s11, v5
	v_add_u32_e32 v13, s38, v5
	;; [unrolled: 1-line block ×3, first 2 shown]
	s_or_b64 s[36:37], vcc, s[36:37]
	s_waitcnt vmcnt(3)
	ds_write_b64 v5, v[10:11]
	v_add_u32_e32 v5, s33, v5
	s_waitcnt vmcnt(2)
	ds_write_b64 v12, v[18:19]
	s_waitcnt vmcnt(1)
	ds_write_b64 v13, v[20:21]
	;; [unrolled: 2-line block ×3, first 2 shown]
	s_andn2_b64 exec, exec, s[36:37]
	s_cbranch_execnz .LBB23_9
; %bb.10:
	s_or_b64 exec, exec, s[36:37]
.LBB23_11:
	s_or_b64 exec, exec, s[26:27]
	v_and_b32_e32 v4, 3, v4
	v_cmp_ne_u32_e32 vcc, 0, v4
	s_and_b64 exec, exec, vcc
	s_cbranch_execz .LBB23_14
; %bb.12:
	v_mul_lo_u32 v2, v1, s10
	s_lshl_b32 s7, s10, 3
	s_lshl_b64 s[16:17], s[16:17], 3
	s_lshl_b64 s[14:15], s[14:15], 3
	v_add_lshl_u32 v5, v0, v2, 3
	v_mad_i64_i32 v[2:3], s[26:27], s24, v1, 0
	s_add_u32 s11, s14, s16
	v_lshlrev_b64 v[2:3], 3, v[2:3]
	s_addc_u32 s14, s15, s17
	v_mov_b32_e32 v1, s14
	v_add_co_u32_e32 v2, vcc, s11, v2
	v_addc_co_u32_e32 v1, vcc, v1, v3, vcc
	v_lshlrev_b32_e32 v3, 3, v0
	v_add_co_u32_e32 v2, vcc, v2, v3
	v_addc_co_u32_e32 v1, vcc, 0, v1, vcc
	s_waitcnt lgkmcnt(0)
	v_mov_b32_e32 v3, s13
	v_add_co_u32_e32 v2, vcc, s12, v2
	s_lshl_b64 s[12:13], s[24:25], 3
	v_addc_co_u32_e32 v3, vcc, v3, v1, vcc
	s_mov_b64 s[14:15], 0
	v_mov_b32_e32 v1, s13
.LBB23_13:                              ; =>This Inner Loop Header: Depth=1
	global_load_dwordx2 v[6:7], v[2:3], off
	v_add_co_u32_e32 v2, vcc, s12, v2
	v_addc_co_u32_e32 v3, vcc, v3, v1, vcc
	v_add_u32_e32 v4, -1, v4
	v_cmp_eq_u32_e32 vcc, 0, v4
	s_or_b64 s[14:15], vcc, s[14:15]
	s_waitcnt vmcnt(0)
	ds_write_b64 v5, v[6:7]
	v_add_u32_e32 v5, s7, v5
	s_andn2_b64 exec, exec, s[14:15]
	s_cbranch_execnz .LBB23_13
.LBB23_14:
	s_or_b64 exec, exec, s[22:23]
	s_waitcnt lgkmcnt(0)
	s_barrier
	s_waitcnt lgkmcnt(0)
                                        ; implicit-def: $vgpr2
	s_and_saveexec_b64 s[12:13], s[2:3]
	s_xor_b64 s[2:3], exec, s[12:13]
; %bb.15:
	v_mad_u64_u32 v[2:3], s[12:13], v0, s10, v[0:1]
; %bb.16:
	s_andn2_saveexec_b64 s[2:3], s[2:3]
	s_cbranch_execz .LBB23_22
; %bb.17:
	v_mad_u64_u32 v[2:3], s[12:13], v0, s10, v[0:1]
	v_mov_b32_e32 v6, 0
	s_cmpk_eq_i32 s9, 0x84
	v_lshlrev_b32_e32 v1, 3, v2
	v_mov_b32_e32 v7, 0x3ff00000
	s_cbranch_scc1 .LBB23_21
; %bb.18:
	ds_read_b64 v[4:5], v1
	v_mov_b32_e32 v6, 0
	v_mov_b32_e32 v7, 0x3ff00000
	s_waitcnt lgkmcnt(0)
	v_cmp_neq_f64_e32 vcc, 0, v[4:5]
	s_and_saveexec_b64 s[12:13], vcc
; %bb.19:
	v_div_scale_f64 v[6:7], s[14:15], v[4:5], v[4:5], 1.0
	v_rcp_f64_e32 v[8:9], v[6:7]
	v_div_scale_f64 v[10:11], vcc, 1.0, v[4:5], 1.0
	v_fma_f64 v[12:13], -v[6:7], v[8:9], 1.0
	v_fmac_f64_e32 v[8:9], v[8:9], v[12:13]
	v_fma_f64 v[12:13], -v[6:7], v[8:9], 1.0
	v_fmac_f64_e32 v[8:9], v[8:9], v[12:13]
	v_mul_f64 v[12:13], v[10:11], v[8:9]
	v_fma_f64 v[6:7], -v[6:7], v[12:13], v[10:11]
	v_div_fmas_f64 v[6:7], v[6:7], v[8:9], v[12:13]
	v_div_fixup_f64 v[6:7], v[6:7], v[4:5], 1.0
; %bb.20:
	s_or_b64 exec, exec, s[12:13]
.LBB23_21:
	ds_write_b64 v1, v[6:7]
.LBB23_22:
	s_or_b64 exec, exec, s[2:3]
	s_lshl_b32 s11, s10, 3
	v_lshlrev_b32_e32 v1, 3, v2
	s_mov_b32 s7, 8
	s_add_i32 s9, s11, 8
	v_add_lshl_u32 v4, v0, s10, 3
	s_mov_b32 s12, 0
	s_waitcnt lgkmcnt(0)
	s_barrier
	s_branch .LBB23_24
.LBB23_23:                              ;   in Loop: Header=BB23_24 Depth=1
	s_add_i32 s7, s7, s9
	s_cmp_eq_u32 s12, s10
	v_add_u32_e32 v4, s11, v4
	s_barrier
	s_cbranch_scc1 .LBB23_33
.LBB23_24:                              ; =>This Loop Header: Depth=1
                                        ;     Child Loop BB23_29 Depth 2
	s_mul_i32 s13, s12, s10
	v_cmp_lt_u32_e32 vcc, s12, v0
	v_pk_mov_b32 v[2:3], 0, 0
	v_add_lshl_u32 v5, s13, v0, 3
	s_and_saveexec_b64 s[2:3], vcc
	s_cbranch_execz .LBB23_26
; %bb.25:                               ;   in Loop: Header=BB23_24 Depth=1
	s_add_i32 s13, s13, s12
	s_lshl_b32 s13, s13, 3
	v_mov_b32_e32 v6, s13
	ds_read_b64 v[2:3], v5
	ds_read_b64 v[6:7], v6
	s_waitcnt lgkmcnt(0)
	v_fma_f64 v[2:3], v[2:3], v[6:7], 0
.LBB23_26:                              ;   in Loop: Header=BB23_24 Depth=1
	s_or_b64 exec, exec, s[2:3]
	s_add_i32 s12, s12, 1
	s_cmp_ge_i32 s12, s10
	s_barrier
	s_cbranch_scc1 .LBB23_23
; %bb.27:                               ;   in Loop: Header=BB23_24 Depth=1
	v_mov_b32_e32 v6, v4
	s_mov_b32 s13, s7
	s_mov_b32 s14, s12
	s_branch .LBB23_29
.LBB23_28:                              ;   in Loop: Header=BB23_29 Depth=2
	s_or_b64 exec, exec, s[2:3]
	s_add_i32 s14, s14, 1
	s_add_i32 s13, s13, 8
	s_cmp_ge_i32 s14, s10
	v_add_u32_e32 v6, s11, v6
	s_barrier
	s_cbranch_scc1 .LBB23_23
.LBB23_29:                              ;   Parent Loop BB23_24 Depth=1
                                        ; =>  This Inner Loop Header: Depth=2
	v_cmp_eq_u32_e32 vcc, s14, v0
	s_and_saveexec_b64 s[2:3], vcc
	s_cbranch_execz .LBB23_31
; %bb.30:                               ;   in Loop: Header=BB23_29 Depth=2
	ds_read_b64 v[8:9], v1
	v_add_f64 v[10:11], -v[2:3], 0
	s_waitcnt lgkmcnt(0)
	v_mul_f64 v[8:9], v[10:11], v[8:9]
	ds_write_b64 v5, v[8:9]
.LBB23_31:                              ;   in Loop: Header=BB23_29 Depth=2
	s_or_b64 exec, exec, s[2:3]
	v_cmp_lt_u32_e32 vcc, s14, v0
	s_waitcnt lgkmcnt(0)
	s_barrier
	s_and_saveexec_b64 s[2:3], vcc
	s_cbranch_execz .LBB23_28
; %bb.32:                               ;   in Loop: Header=BB23_29 Depth=2
	v_mov_b32_e32 v7, s13
	ds_read_b64 v[8:9], v6
	ds_read_b64 v[10:11], v7
	s_waitcnt lgkmcnt(0)
	v_fmac_f64_e32 v[2:3], v[8:9], v[10:11]
	s_branch .LBB23_28
.LBB23_33:
	s_and_saveexec_b64 s[2:3], s[0:1]
	s_cbranch_execz .LBB23_46
; %bb.34:
	s_load_dwordx2 s[2:3], s[4:5], 0x58
	s_load_dword s0, s[4:5], 0x48
	s_mov_b64 s[4:5], -1
	v_lshlrev_b32_e32 v1, 3, v0
	s_waitcnt lgkmcnt(0)
	s_mul_i32 s1, s6, s3
	s_mul_hi_u32 s3, s6, s2
	s_add_i32 s3, s3, s1
	s_mul_i32 s2, s6, s2
	s_cmpk_lg_i32 s8, 0x7a
	s_cbranch_scc0 .LBB23_38
; %bb.35:
	s_add_i32 s6, s10, -1
	s_ashr_i32 s1, s0, 31
	s_mul_i32 s7, s1, s6
	s_mul_hi_u32 s8, s0, s6
	s_add_i32 s7, s8, s7
	s_mul_i32 s6, s0, s6
	s_lshl_b64 s[4:5], s[2:3], 3
	s_lshl_b64 s[6:7], s[6:7], 3
	s_add_u32 s6, s4, s6
	s_addc_u32 s7, s5, s7
	s_lshl_b64 s[4:5], s[20:21], 3
	s_add_u32 s4, s6, s4
	s_addc_u32 s5, s7, s5
	s_add_u32 s4, s18, s4
	s_addc_u32 s5, s19, s5
	s_lshl_b64 s[6:7], s[0:1], 3
	v_lshlrev_b32_e32 v4, 3, v0
	s_sub_u32 s1, 0, s6
	v_mov_b32_e32 v3, s5
	v_add_co_u32_e32 v2, vcc, s4, v4
	s_subb_u32 s6, 0, s7
	v_sub_u32_e32 v4, s11, v4
	v_addc_co_u32_e32 v3, vcc, 0, v3, vcc
	s_mov_b64 s[4:5], 0
	v_add_u32_e32 v4, -8, v4
	v_mov_b32_e32 v5, s6
	s_mov_b32 s6, s10
.LBB23_36:                              ; =>This Inner Loop Header: Depth=1
	ds_read_b64 v[6:7], v4
	s_add_i32 s6, s6, -1
	v_cmp_le_i32_e32 vcc, s6, v0
	s_or_b64 s[4:5], vcc, s[4:5]
	v_add_u32_e32 v4, s11, v4
	s_waitcnt lgkmcnt(0)
	global_store_dwordx2 v[2:3], v[6:7], off
	v_add_co_u32_e32 v2, vcc, s1, v2
	v_addc_co_u32_e32 v3, vcc, v3, v5, vcc
	s_andn2_b64 exec, exec, s[4:5]
	s_cbranch_execnz .LBB23_36
; %bb.37:
	s_or_b64 exec, exec, s[4:5]
	s_mov_b64 s[4:5], 0
.LBB23_38:
	s_and_b64 vcc, exec, s[4:5]
	s_cbranch_vccz .LBB23_46
; %bb.39:
	v_mov_b32_e32 v4, 0
	s_ashr_i32 s1, s0, 31
	v_add_u32_e32 v5, 1, v0
	v_cmp_lt_u32_e32 vcc, 2, v0
	s_and_saveexec_b64 s[4:5], vcc
	s_cbranch_execz .LBB23_43
; %bb.40:
	s_lshl_b64 s[6:7], s[20:21], 3
	s_add_u32 s8, s18, s6
	s_addc_u32 s9, s19, s7
	s_lshl_b64 s[6:7], s[2:3], 3
	s_add_u32 s6, s8, s6
	s_addc_u32 s7, s9, s7
	v_mov_b32_e32 v3, s7
	v_add_co_u32_e32 v2, vcc, s6, v1
	s_mul_hi_i32 s25, s0, 24
	s_lshl_b64 s[6:7], s[0:1], 5
	s_lshl_b64 s[8:9], s[0:1], 4
	;; [unrolled: 1-line block ×3, first 2 shown]
	v_addc_co_u32_e32 v3, vcc, 0, v3, vcc
	v_and_b32_e32 v4, 0x7fc, v5
	s_mul_i32 s16, s0, 24
	s_lshl_b32 s17, s10, 5
	s_lshl_b32 s22, s10, 4
	s_mul_i32 s23, s10, 24
	s_mov_b32 s24, 0
	s_mov_b64 s[14:15], 0
	v_mov_b32_e32 v6, s13
	v_mov_b32_e32 v7, s9
	;; [unrolled: 1-line block ×5, first 2 shown]
.LBB23_41:                              ; =>This Inner Loop Header: Depth=1
	v_add_co_u32_e32 v14, vcc, s12, v2
	v_addc_co_u32_e32 v15, vcc, v3, v6, vcc
	ds_read_b64 v[12:13], v10
	v_add_co_u32_e32 v16, vcc, s8, v2
	v_add_u32_e32 v11, s11, v10
	v_add_u32_e32 v22, s22, v10
	v_addc_co_u32_e32 v17, vcc, v3, v7, vcc
	v_add_u32_e32 v24, s23, v10
	v_add_co_u32_e32 v18, vcc, s16, v2
	ds_read_b64 v[20:21], v11
	ds_read_b64 v[22:23], v22
	;; [unrolled: 1-line block ×3, first 2 shown]
	v_addc_co_u32_e32 v19, vcc, v3, v8, vcc
	s_add_i32 s24, s24, 4
	v_cmp_eq_u32_e32 vcc, s24, v4
	s_or_b64 s[14:15], vcc, s[14:15]
	s_waitcnt lgkmcnt(3)
	global_store_dwordx2 v[2:3], v[12:13], off
	v_add_co_u32_e32 v2, vcc, s6, v2
	v_add_u32_e32 v10, s17, v10
	v_addc_co_u32_e32 v3, vcc, v3, v9, vcc
	s_waitcnt lgkmcnt(2)
	global_store_dwordx2 v[14:15], v[20:21], off
	s_waitcnt lgkmcnt(1)
	global_store_dwordx2 v[16:17], v[22:23], off
	;; [unrolled: 2-line block ×3, first 2 shown]
	s_andn2_b64 exec, exec, s[14:15]
	s_cbranch_execnz .LBB23_41
; %bb.42:
	s_or_b64 exec, exec, s[14:15]
.LBB23_43:
	s_or_b64 exec, exec, s[4:5]
	v_and_b32_e32 v5, 3, v5
	v_cmp_ne_u32_e32 vcc, 0, v5
	s_and_b64 exec, exec, vcc
	s_cbranch_execz .LBB23_46
; %bb.44:
	v_mad_i64_i32 v[2:3], s[4:5], s0, v4, 0
	s_lshl_b64 s[2:3], s[2:3], 3
	s_lshl_b64 s[4:5], s[20:21], 3
	s_add_u32 s2, s4, s2
	v_lshlrev_b64 v[2:3], 3, v[2:3]
	s_addc_u32 s3, s5, s3
	v_mov_b32_e32 v6, s3
	v_add_co_u32_e32 v2, vcc, s2, v2
	v_addc_co_u32_e32 v3, vcc, v6, v3, vcc
	v_add_co_u32_e32 v1, vcc, v2, v1
	v_addc_co_u32_e32 v3, vcc, 0, v3, vcc
	v_mov_b32_e32 v6, s19
	v_add_co_u32_e32 v2, vcc, s18, v1
	s_lshl_b64 s[0:1], s[0:1], 3
	v_mul_lo_u32 v1, v4, s10
	v_addc_co_u32_e32 v3, vcc, v6, v3, vcc
	v_add_lshl_u32 v0, v0, v1, 3
	s_mov_b64 s[2:3], 0
	v_mov_b32_e32 v1, s1
.LBB23_45:                              ; =>This Inner Loop Header: Depth=1
	ds_read_b64 v[6:7], v0
	v_add_u32_e32 v5, -1, v5
	v_cmp_eq_u32_e32 vcc, 0, v5
	s_or_b64 s[2:3], vcc, s[2:3]
	v_add_u32_e32 v0, s11, v0
	s_waitcnt lgkmcnt(0)
	global_store_dwordx2 v[2:3], v[6:7], off
	v_add_co_u32_e32 v2, vcc, s0, v2
	v_addc_co_u32_e32 v3, vcc, v3, v1, vcc
	s_andn2_b64 exec, exec, s[2:3]
	s_cbranch_execnz .LBB23_45
.LBB23_46:
	s_endpgm
	.section	.rodata,"a",@progbits
	.p2align	6, 0x0
	.amdhsa_kernel _ZL30rocblas_trtri_remainder_kernelILi16EdPKPKdPKPdEv13rocblas_fill_17rocblas_diagonal_iT1_lillT2_lilli
		.amdhsa_group_segment_fixed_size 8192
		.amdhsa_private_segment_fixed_size 0
		.amdhsa_kernarg_size 100
		.amdhsa_user_sgpr_count 6
		.amdhsa_user_sgpr_private_segment_buffer 1
		.amdhsa_user_sgpr_dispatch_ptr 0
		.amdhsa_user_sgpr_queue_ptr 0
		.amdhsa_user_sgpr_kernarg_segment_ptr 1
		.amdhsa_user_sgpr_dispatch_id 0
		.amdhsa_user_sgpr_flat_scratch_init 0
		.amdhsa_user_sgpr_kernarg_preload_length 0
		.amdhsa_user_sgpr_kernarg_preload_offset 0
		.amdhsa_user_sgpr_private_segment_size 0
		.amdhsa_uses_dynamic_stack 0
		.amdhsa_system_sgpr_private_segment_wavefront_offset 0
		.amdhsa_system_sgpr_workgroup_id_x 1
		.amdhsa_system_sgpr_workgroup_id_y 0
		.amdhsa_system_sgpr_workgroup_id_z 1
		.amdhsa_system_sgpr_workgroup_info 0
		.amdhsa_system_vgpr_workitem_id 0
		.amdhsa_next_free_vgpr 26
		.amdhsa_next_free_sgpr 42
		.amdhsa_accum_offset 28
		.amdhsa_reserve_vcc 1
		.amdhsa_reserve_flat_scratch 0
		.amdhsa_float_round_mode_32 0
		.amdhsa_float_round_mode_16_64 0
		.amdhsa_float_denorm_mode_32 3
		.amdhsa_float_denorm_mode_16_64 3
		.amdhsa_dx10_clamp 1
		.amdhsa_ieee_mode 1
		.amdhsa_fp16_overflow 0
		.amdhsa_tg_split 0
		.amdhsa_exception_fp_ieee_invalid_op 0
		.amdhsa_exception_fp_denorm_src 0
		.amdhsa_exception_fp_ieee_div_zero 0
		.amdhsa_exception_fp_ieee_overflow 0
		.amdhsa_exception_fp_ieee_underflow 0
		.amdhsa_exception_fp_ieee_inexact 0
		.amdhsa_exception_int_div_zero 0
	.end_amdhsa_kernel
	.section	.text._ZL30rocblas_trtri_remainder_kernelILi16EdPKPKdPKPdEv13rocblas_fill_17rocblas_diagonal_iT1_lillT2_lilli,"axG",@progbits,_ZL30rocblas_trtri_remainder_kernelILi16EdPKPKdPKPdEv13rocblas_fill_17rocblas_diagonal_iT1_lillT2_lilli,comdat
.Lfunc_end23:
	.size	_ZL30rocblas_trtri_remainder_kernelILi16EdPKPKdPKPdEv13rocblas_fill_17rocblas_diagonal_iT1_lillT2_lilli, .Lfunc_end23-_ZL30rocblas_trtri_remainder_kernelILi16EdPKPKdPKPdEv13rocblas_fill_17rocblas_diagonal_iT1_lillT2_lilli
                                        ; -- End function
	.section	.AMDGPU.csdata,"",@progbits
; Kernel info:
; codeLenInByte = 2000
; NumSgprs: 46
; NumVgprs: 26
; NumAgprs: 0
; TotalNumVgprs: 26
; ScratchSize: 0
; MemoryBound: 0
; FloatMode: 240
; IeeeMode: 1
; LDSByteSize: 8192 bytes/workgroup (compile time only)
; SGPRBlocks: 5
; VGPRBlocks: 3
; NumSGPRsForWavesPerEU: 46
; NumVGPRsForWavesPerEU: 26
; AccumOffset: 28
; Occupancy: 8
; WaveLimiterHint : 0
; COMPUTE_PGM_RSRC2:SCRATCH_EN: 0
; COMPUTE_PGM_RSRC2:USER_SGPR: 6
; COMPUTE_PGM_RSRC2:TRAP_HANDLER: 0
; COMPUTE_PGM_RSRC2:TGID_X_EN: 1
; COMPUTE_PGM_RSRC2:TGID_Y_EN: 0
; COMPUTE_PGM_RSRC2:TGID_Z_EN: 1
; COMPUTE_PGM_RSRC2:TIDIG_COMP_CNT: 0
; COMPUTE_PGM_RSRC3_GFX90A:ACCUM_OFFSET: 6
; COMPUTE_PGM_RSRC3_GFX90A:TG_SPLIT: 0
	.section	.text._ZL18rocblas_trtri_fillILi128E19rocblas_complex_numIfEPKPS1_EvP15_rocblas_handle13rocblas_fill_ililT1_llii,"axG",@progbits,_ZL18rocblas_trtri_fillILi128E19rocblas_complex_numIfEPKPS1_EvP15_rocblas_handle13rocblas_fill_ililT1_llii,comdat
	.globl	_ZL18rocblas_trtri_fillILi128E19rocblas_complex_numIfEPKPS1_EvP15_rocblas_handle13rocblas_fill_ililT1_llii ; -- Begin function _ZL18rocblas_trtri_fillILi128E19rocblas_complex_numIfEPKPS1_EvP15_rocblas_handle13rocblas_fill_ililT1_llii
	.p2align	8
	.type	_ZL18rocblas_trtri_fillILi128E19rocblas_complex_numIfEPKPS1_EvP15_rocblas_handle13rocblas_fill_ililT1_llii,@function
_ZL18rocblas_trtri_fillILi128E19rocblas_complex_numIfEPKPS1_EvP15_rocblas_handle13rocblas_fill_ililT1_llii: ; @_ZL18rocblas_trtri_fillILi128E19rocblas_complex_numIfEPKPS1_EvP15_rocblas_handle13rocblas_fill_ililT1_llii
; %bb.0:
	s_load_dword s1, s[4:5], 0x40
	s_load_dwordx2 s[2:3], s[4:5], 0x10
	s_mov_b32 s0, s7
	s_waitcnt lgkmcnt(0)
	s_ashr_i32 s7, s1, 31
	s_mul_i32 s8, s1, s3
	s_mul_hi_u32 s9, s1, s2
	s_add_i32 s8, s9, s8
	s_mul_i32 s7, s7, s2
	s_add_i32 s13, s8, s7
	s_mov_b32 s7, 0
	s_lshl_b64 s[8:9], s[6:7], 7
	s_mul_i32 s12, s1, s2
	v_or_b32_e32 v0, s8, v0
	v_mov_b32_e32 v1, s9
	v_cmp_gt_u64_e32 vcc, s[12:13], v[0:1]
	s_and_saveexec_b64 s[8:9], vcc
	s_cbranch_execz .LBB24_16
; %bb.1:
	s_load_dword s6, s[4:5], 0x18
	s_load_dwordx4 s[8:11], s[4:5], 0x20
	s_load_dwordx2 s[14:15], s[4:5], 0x30
	s_mov_b32 s1, s7
	s_lshl_b64 s[0:1], s[0:1], 3
	s_waitcnt lgkmcnt(0)
	s_ashr_i32 s7, s6, 31
	s_add_u32 s0, s10, s0
	s_addc_u32 s1, s11, s1
	s_load_dwordx2 s[16:17], s[0:1], 0x0
	s_load_dwordx2 s[10:11], s[4:5], 0x8
	s_lshl_b64 s[0:1], s[14:15], 3
	v_cvt_f32_u32_e32 v4, s2
	v_cvt_f32_u32_e32 v5, s3
	s_waitcnt lgkmcnt(0)
	s_add_u32 s20, s16, s0
	s_addc_u32 s21, s17, s1
	s_add_i32 s0, s11, -2
	v_cvt_f64_i32_e32 v[2:3], s0
	s_add_i32 s0, s11, -1
	s_mul_hi_i32 s1, s0, s11
	s_mul_i32 s0, s0, s11
	s_ashr_i32 s22, s11, 31
	s_lshl_b64 s[14:15], s[0:1], 2
	s_mov_b32 s23, s11
	s_add_u32 s11, s14, -7
	s_load_dword s14, s[4:5], 0x48
	s_load_dword s16, s[4:5], 0x54
	v_madmk_f32 v4, v5, 0x4f800000, v4
	v_rcp_f32_e32 v5, v4
	v_cvt_f32_u32_e32 v7, s2
	s_addc_u32 s24, s15, -1
	s_lshr_b64 s[4:5], s[0:1], 1
	v_mul_f32_e32 v5, 0x5f7ffffc, v5
	v_mul_f32_e32 v6, 0x2f800000, v5
	v_trunc_f32_e32 v6, v6
	v_madmk_f32 v5, v6, 0xcf800000, v5
	v_cvt_u32_f32_e32 v12, v5
	v_rcp_iflag_f32_e32 v5, v7
	v_cvt_u32_f32_e32 v13, v6
	s_waitcnt lgkmcnt(0)
	s_and_b32 s0, s16, 0xffff
	s_mov_b32 s16, 0
	v_mul_f32_e32 v5, 0x4f7ffffe, v5
	v_cvt_u32_f32_e32 v14, v5
	s_mul_hi_u32 s25, s0, s14
	s_mul_i32 s26, s0, s14
	s_mov_b64 s[14:15], 0
	v_mov_b32_e32 v4, 0
	s_brev_b32 s17, 8
	v_mov_b32_e32 v15, 0x260
	s_movk_i32 s27, 0xffe0
	v_mov_b32_e32 v16, 0xffffff80
	s_branch .LBB24_3
.LBB24_2:                               ;   in Loop: Header=BB24_3 Depth=1
	v_mov_b32_e32 v5, s25
	v_add_co_u32_e32 v0, vcc, s26, v0
	v_addc_co_u32_e32 v1, vcc, v1, v5, vcc
	v_cmp_le_u64_e32 vcc, s[12:13], v[0:1]
	s_or_b64 s[14:15], vcc, s[14:15]
	s_andn2_b64 exec, exec, s[14:15]
	s_cbranch_execz .LBB24_16
.LBB24_3:                               ; =>This Inner Loop Header: Depth=1
	v_or_b32_e32 v5, s3, v1
	v_cmp_ne_u64_e32 vcc, 0, v[4:5]
                                        ; implicit-def: $vgpr6_vgpr7
	s_and_saveexec_b64 s[0:1], vcc
	s_xor_b64 s[18:19], exec, s[0:1]
	s_cbranch_execz .LBB24_5
; %bb.4:                                ;   in Loop: Header=BB24_3 Depth=1
	s_sub_u32 s0, 0, s2
	s_subb_u32 s1, 0, s3
	v_mul_hi_u32 v6, s0, v12
	v_mul_lo_u32 v7, s0, v13
	v_mul_lo_u32 v5, s1, v12
	v_add_u32_e32 v6, v6, v7
	v_add_u32_e32 v5, v6, v5
	v_mul_lo_u32 v8, s0, v12
	v_mul_lo_u32 v7, v12, v5
	v_mul_hi_u32 v9, v12, v8
	v_mul_hi_u32 v6, v12, v5
	v_add_co_u32_e32 v7, vcc, v9, v7
	v_addc_co_u32_e32 v6, vcc, 0, v6, vcc
	v_mul_hi_u32 v10, v13, v8
	v_mul_lo_u32 v8, v13, v8
	v_add_co_u32_e32 v7, vcc, v7, v8
	v_mul_hi_u32 v9, v13, v5
	v_addc_co_u32_e32 v6, vcc, v6, v10, vcc
	v_addc_co_u32_e32 v7, vcc, 0, v9, vcc
	v_mul_lo_u32 v5, v13, v5
	v_add_co_u32_e32 v5, vcc, v6, v5
	v_addc_co_u32_e32 v6, vcc, 0, v7, vcc
	v_add_co_u32_e32 v5, vcc, v12, v5
	v_addc_co_u32_e32 v6, vcc, v13, v6, vcc
	v_mul_lo_u32 v7, s0, v6
	v_mul_hi_u32 v8, s0, v5
	v_add_u32_e32 v7, v8, v7
	v_mul_lo_u32 v8, s1, v5
	v_add_u32_e32 v7, v7, v8
	v_mul_lo_u32 v9, s0, v5
	v_mul_hi_u32 v10, v6, v9
	v_mul_lo_u32 v11, v6, v9
	v_mul_lo_u32 v18, v5, v7
	v_mul_hi_u32 v9, v5, v9
	v_mul_hi_u32 v17, v5, v7
	v_add_co_u32_e32 v9, vcc, v9, v18
	v_addc_co_u32_e32 v17, vcc, 0, v17, vcc
	v_add_co_u32_e32 v9, vcc, v9, v11
	v_mul_hi_u32 v8, v6, v7
	v_addc_co_u32_e32 v9, vcc, v17, v10, vcc
	v_addc_co_u32_e32 v8, vcc, 0, v8, vcc
	v_mul_lo_u32 v7, v6, v7
	v_add_co_u32_e32 v7, vcc, v9, v7
	v_addc_co_u32_e32 v8, vcc, 0, v8, vcc
	v_add_co_u32_e32 v5, vcc, v5, v7
	v_addc_co_u32_e32 v8, vcc, v6, v8, vcc
	v_mad_u64_u32 v[6:7], s[0:1], v0, v8, 0
	v_mul_hi_u32 v9, v0, v5
	v_add_co_u32_e32 v10, vcc, v9, v6
	v_addc_co_u32_e32 v11, vcc, 0, v7, vcc
	v_mad_u64_u32 v[6:7], s[0:1], v1, v8, 0
	v_mad_u64_u32 v[8:9], s[0:1], v1, v5, 0
	v_add_co_u32_e32 v5, vcc, v10, v8
	v_addc_co_u32_e32 v5, vcc, v11, v9, vcc
	v_addc_co_u32_e32 v7, vcc, 0, v7, vcc
	v_add_co_u32_e32 v5, vcc, v5, v6
	v_addc_co_u32_e32 v8, vcc, 0, v7, vcc
	v_mul_lo_u32 v9, s3, v5
	v_mul_lo_u32 v10, s2, v8
	v_mad_u64_u32 v[6:7], s[0:1], s2, v5, 0
	v_add3_u32 v7, v7, v10, v9
	v_sub_u32_e32 v9, v1, v7
	v_mov_b32_e32 v10, s3
	v_sub_co_u32_e32 v6, vcc, v0, v6
	v_subb_co_u32_e64 v9, s[0:1], v9, v10, vcc
	v_subrev_co_u32_e64 v10, s[0:1], s2, v6
	v_subbrev_co_u32_e64 v9, s[0:1], 0, v9, s[0:1]
	v_cmp_le_u32_e64 s[0:1], s3, v9
	v_cndmask_b32_e64 v11, 0, -1, s[0:1]
	v_cmp_le_u32_e64 s[0:1], s2, v10
	v_cndmask_b32_e64 v10, 0, -1, s[0:1]
	v_cmp_eq_u32_e64 s[0:1], s3, v9
	v_cndmask_b32_e64 v9, v11, v10, s[0:1]
	v_add_co_u32_e64 v10, s[0:1], 2, v5
	v_addc_co_u32_e64 v11, s[0:1], 0, v8, s[0:1]
	v_add_co_u32_e64 v17, s[0:1], 1, v5
	v_addc_co_u32_e64 v18, s[0:1], 0, v8, s[0:1]
	v_subb_co_u32_e32 v7, vcc, v1, v7, vcc
	v_cmp_ne_u32_e64 s[0:1], 0, v9
	v_cmp_le_u32_e32 vcc, s3, v7
	v_cndmask_b32_e64 v9, v18, v11, s[0:1]
	v_cndmask_b32_e64 v11, 0, -1, vcc
	v_cmp_le_u32_e32 vcc, s2, v6
	v_cndmask_b32_e64 v6, 0, -1, vcc
	v_cmp_eq_u32_e32 vcc, s3, v7
	v_cndmask_b32_e32 v6, v11, v6, vcc
	v_cmp_ne_u32_e32 vcc, 0, v6
	v_cndmask_b32_e64 v6, v17, v10, s[0:1]
	v_cndmask_b32_e32 v7, v8, v9, vcc
	v_cndmask_b32_e32 v6, v5, v6, vcc
.LBB24_5:                               ;   in Loop: Header=BB24_3 Depth=1
	s_andn2_saveexec_b64 s[0:1], s[18:19]
	s_cbranch_execz .LBB24_7
; %bb.6:                                ;   in Loop: Header=BB24_3 Depth=1
	s_sub_i32 s18, 0, s2
	v_mul_lo_u32 v5, s18, v14
	v_mul_hi_u32 v5, v14, v5
	v_add_u32_e32 v5, v14, v5
	v_mul_hi_u32 v5, v0, v5
	v_mul_lo_u32 v6, v5, s2
	v_sub_u32_e32 v6, v0, v6
	v_subrev_u32_e32 v7, s2, v6
	v_cmp_le_u32_e32 vcc, s2, v6
	v_cndmask_b32_e32 v6, v6, v7, vcc
	v_add_u32_e32 v7, 1, v5
	v_cndmask_b32_e32 v5, v5, v7, vcc
	v_add_u32_e32 v7, 1, v5
	v_cmp_le_u32_e32 vcc, s2, v6
	v_cndmask_b32_e32 v6, v5, v7, vcc
	v_mov_b32_e32 v7, v4
.LBB24_7:                               ;   in Loop: Header=BB24_3 Depth=1
	s_or_b64 exec, exec, s[0:1]
	v_mul_lo_u32 v5, v7, s2
	v_mul_lo_u32 v10, v6, s3
	v_mad_u64_u32 v[8:9], s[0:1], v6, s2, 0
	v_add3_u32 v5, v9, v10, v5
	v_sub_co_u32_e32 v8, vcc, v0, v8
	s_cmpk_lt_i32 s10, 0x7a
	v_subb_co_u32_e32 v9, vcc, v1, v5, vcc
	s_cbranch_scc1 .LBB24_10
; %bb.8:                                ;   in Loop: Header=BB24_3 Depth=1
	s_mov_b64 s[0:1], 0
	s_cmpk_eq_i32 s10, 0x7a
	s_mov_b64 s[18:19], 0
                                        ; implicit-def: $vgpr10_vgpr11
	s_cbranch_scc0 .LBB24_11
; %bb.9:                                ;   in Loop: Header=BB24_3 Depth=1
	v_lshlrev_b64 v[10:11], 3, v[8:9]
	v_mov_b32_e32 v5, s24
	v_sub_co_u32_e32 v17, vcc, s11, v10
	v_subb_co_u32_e32 v5, vcc, v5, v11, vcc
	v_cvt_f64_u32_e32 v[10:11], v5
	v_ldexp_f64 v[10:11], v[10:11], 32
	v_cvt_f64_u32_e32 v[18:19], v17
	v_add_f64 v[10:11], v[10:11], v[18:19]
	v_cmp_gt_f64_e32 vcc, s[16:17], v[10:11]
	v_cndmask_b32_e64 v5, 0, 1, vcc
	v_lshlrev_b32_e32 v5, 8, v5
	v_ldexp_f64 v[10:11], v[10:11], v5
	v_rsq_f64_e32 v[18:19], v[10:11]
	v_cndmask_b32_e32 v5, 0, v16, vcc
	v_cmp_class_f64_e32 vcc, v[10:11], v15
	v_mul_f64 v[20:21], v[10:11], v[18:19]
	v_mul_f64 v[18:19], v[18:19], 0.5
	v_fma_f64 v[22:23], -v[18:19], v[20:21], 0.5
	v_fmac_f64_e32 v[20:21], v[20:21], v[22:23]
	v_fma_f64 v[24:25], -v[20:21], v[20:21], v[10:11]
	v_fmac_f64_e32 v[18:19], v[18:19], v[22:23]
	v_fmac_f64_e32 v[20:21], v[24:25], v[18:19]
	v_fma_f64 v[22:23], -v[20:21], v[20:21], v[10:11]
	v_fmac_f64_e32 v[20:21], v[22:23], v[18:19]
	v_ldexp_f64 v[18:19], v[20:21], v5
	v_cndmask_b32_e32 v11, v19, v11, vcc
	v_cndmask_b32_e32 v10, v18, v10, vcc
	v_fma_f64 v[10:11], v[10:11], 0.5, -0.5
	v_floor_f64_e32 v[10:11], v[10:11]
	v_add_f64 v[10:11], v[2:3], -v[10:11]
	v_trunc_f64_e32 v[10:11], v[10:11]
	v_ldexp_f64 v[18:19], v[10:11], s27
	v_floor_f64_e32 v[18:19], v[18:19]
	v_fmac_f64_e32 v[10:11], 0xc1f00000, v[18:19]
	v_cvt_u32_f64_e32 v10, v[10:11]
	v_cvt_u32_f64_e32 v11, v[18:19]
	v_mov_b32_e32 v5, s5
	v_subrev_co_u32_e32 v18, vcc, s4, v8
	v_subb_co_u32_e32 v19, vcc, v9, v5, vcc
	v_mov_b32_e32 v5, s22
	v_sub_co_u32_e32 v17, vcc, s23, v10
	v_subb_co_u32_e32 v5, vcc, v5, v11, vcc
	v_add_co_u32_e32 v20, vcc, -1, v17
	v_addc_co_u32_e32 v21, vcc, -1, v5, vcc
	v_mul_lo_u32 v22, v21, v17
	v_mul_lo_u32 v5, v20, v5
	v_mad_u64_u32 v[20:21], s[18:19], v20, v17, 0
	v_add3_u32 v21, v21, v5, v22
	v_mul_lo_u32 v5, v7, s8
	v_mul_lo_u32 v17, v6, s9
	v_mad_u64_u32 v[22:23], s[18:19], v6, s8, 0
	v_add3_u32 v23, v23, v17, v5
	v_mul_lo_u32 v5, v10, s7
	v_mad_u64_u32 v[24:25], s[18:19], v10, s6, 0
	v_mul_lo_u32 v17, v11, s6
	v_lshlrev_b64 v[22:23], 3, v[22:23]
	v_add3_u32 v25, v25, v5, v17
	v_mov_b32_e32 v5, s21
	v_add_co_u32_e32 v17, vcc, s20, v22
	v_addc_co_u32_e32 v5, vcc, v5, v23, vcc
	v_lshlrev_b64 v[22:23], 3, v[24:25]
	v_add_co_u32_e32 v17, vcc, v17, v22
	v_addc_co_u32_e32 v5, vcc, v5, v23, vcc
	v_lshlrev_b64 v[18:19], 3, v[18:19]
	;; [unrolled: 3-line block ×4, first 2 shown]
	v_and_b32_e32 v10, -8, v10
	v_add_co_u32_e32 v10, vcc, v17, v10
	v_addc_co_u32_e32 v5, vcc, v5, v11, vcc
	v_add_co_u32_e32 v10, vcc, 8, v10
	v_addc_co_u32_e32 v11, vcc, 0, v5, vcc
	s_mov_b64 s[18:19], -1
	s_branch .LBB24_11
.LBB24_10:                              ;   in Loop: Header=BB24_3 Depth=1
	s_mov_b64 s[0:1], -1
	s_mov_b64 s[18:19], 0
                                        ; implicit-def: $vgpr10_vgpr11
.LBB24_11:                              ;   in Loop: Header=BB24_3 Depth=1
	s_and_b64 vcc, exec, s[0:1]
	s_cbranch_vccz .LBB24_14
; %bb.12:                               ;   in Loop: Header=BB24_3 Depth=1
	s_cmpk_eq_i32 s10, 0x79
                                        ; implicit-def: $vgpr10_vgpr11
	s_cbranch_scc0 .LBB24_14
; %bb.13:                               ;   in Loop: Header=BB24_3 Depth=1
	v_lshlrev_b64 v[10:11], 3, v[8:9]
	v_or_b32_e32 v5, 1, v10
	v_cvt_f64_u32_e32 v[10:11], v11
	v_ldexp_f64 v[10:11], v[10:11], 32
	v_cvt_f64_u32_e32 v[18:19], v5
	v_add_f64 v[10:11], v[10:11], v[18:19]
	v_cmp_gt_f64_e32 vcc, s[16:17], v[10:11]
	v_cndmask_b32_e64 v5, 0, 1, vcc
	v_lshlrev_b32_e32 v5, 8, v5
	v_ldexp_f64 v[10:11], v[10:11], v5
	v_rsq_f64_e32 v[18:19], v[10:11]
	v_cndmask_b32_e32 v5, 0, v16, vcc
	v_cmp_class_f64_e32 vcc, v[10:11], v15
	v_mul_lo_u32 v17, v6, s9
	v_mul_f64 v[20:21], v[10:11], v[18:19]
	v_mul_f64 v[18:19], v[18:19], 0.5
	v_fma_f64 v[22:23], -v[18:19], v[20:21], 0.5
	v_fmac_f64_e32 v[20:21], v[20:21], v[22:23]
	v_fma_f64 v[24:25], -v[20:21], v[20:21], v[10:11]
	v_fmac_f64_e32 v[18:19], v[18:19], v[22:23]
	v_fmac_f64_e32 v[20:21], v[24:25], v[18:19]
	v_fma_f64 v[22:23], -v[20:21], v[20:21], v[10:11]
	v_fmac_f64_e32 v[20:21], v[22:23], v[18:19]
	v_ldexp_f64 v[18:19], v[20:21], v5
	v_cndmask_b32_e32 v11, v19, v11, vcc
	v_cndmask_b32_e32 v10, v18, v10, vcc
	v_add_f64 v[10:11], v[10:11], -1.0
	v_mul_f64 v[10:11], v[10:11], 0.5
	v_trunc_f64_e32 v[10:11], v[10:11]
	v_ldexp_f64 v[18:19], v[10:11], s27
	v_floor_f64_e32 v[18:19], v[18:19]
	v_fmac_f64_e32 v[10:11], 0xc1f00000, v[18:19]
	v_cvt_u32_f64_e32 v10, v[10:11]
	v_cvt_u32_f64_e32 v11, v[18:19]
	v_mad_u64_u32 v[18:19], s[0:1], v10, v10, v[10:11]
	v_mul_lo_u32 v5, v10, v11
	v_add3_u32 v19, v5, v19, v5
	v_lshrrev_b64 v[18:19], 1, v[18:19]
	v_sub_co_u32_e32 v8, vcc, v8, v18
	v_mul_lo_u32 v5, v7, s8
	v_mad_u64_u32 v[6:7], s[0:1], v6, s8, 0
	v_subb_co_u32_e32 v9, vcc, v9, v19, vcc
	v_add3_u32 v7, v7, v17, v5
	v_pk_mov_b32 v[18:19], s[6:7], s[6:7] op_sel:[0,1]
	v_mul_lo_u32 v5, s7, v10
	v_mad_u64_u32 v[18:19], s[0:1], s6, v10, v[18:19]
	v_mul_lo_u32 v10, s6, v11
	v_lshlrev_b64 v[6:7], 3, v[6:7]
	v_add3_u32 v19, v5, v19, v10
	v_mov_b32_e32 v5, s21
	v_add_co_u32_e32 v10, vcc, s20, v6
	v_addc_co_u32_e32 v5, vcc, v5, v7, vcc
	v_lshlrev_b64 v[6:7], 3, v[18:19]
	v_add_co_u32_e32 v10, vcc, v10, v6
	v_addc_co_u32_e32 v5, vcc, v5, v7, vcc
	v_lshlrev_b64 v[6:7], 3, v[8:9]
	v_add_co_u32_e32 v10, vcc, v10, v6
	v_addc_co_u32_e32 v11, vcc, v5, v7, vcc
	s_mov_b64 s[18:19], -1
.LBB24_14:                              ;   in Loop: Header=BB24_3 Depth=1
	s_and_b64 vcc, exec, s[18:19]
	s_cbranch_vccz .LBB24_2
; %bb.15:                               ;   in Loop: Header=BB24_3 Depth=1
	v_mov_b32_e32 v5, v4
	global_store_dwordx2 v[10:11], v[4:5], off
	s_branch .LBB24_2
.LBB24_16:
	s_endpgm
	.section	.rodata,"a",@progbits
	.p2align	6, 0x0
	.amdhsa_kernel _ZL18rocblas_trtri_fillILi128E19rocblas_complex_numIfEPKPS1_EvP15_rocblas_handle13rocblas_fill_ililT1_llii
		.amdhsa_group_segment_fixed_size 0
		.amdhsa_private_segment_fixed_size 0
		.amdhsa_kernarg_size 328
		.amdhsa_user_sgpr_count 6
		.amdhsa_user_sgpr_private_segment_buffer 1
		.amdhsa_user_sgpr_dispatch_ptr 0
		.amdhsa_user_sgpr_queue_ptr 0
		.amdhsa_user_sgpr_kernarg_segment_ptr 1
		.amdhsa_user_sgpr_dispatch_id 0
		.amdhsa_user_sgpr_flat_scratch_init 0
		.amdhsa_user_sgpr_kernarg_preload_length 0
		.amdhsa_user_sgpr_kernarg_preload_offset 0
		.amdhsa_user_sgpr_private_segment_size 0
		.amdhsa_uses_dynamic_stack 0
		.amdhsa_system_sgpr_private_segment_wavefront_offset 0
		.amdhsa_system_sgpr_workgroup_id_x 1
		.amdhsa_system_sgpr_workgroup_id_y 0
		.amdhsa_system_sgpr_workgroup_id_z 1
		.amdhsa_system_sgpr_workgroup_info 0
		.amdhsa_system_vgpr_workitem_id 0
		.amdhsa_next_free_vgpr 26
		.amdhsa_next_free_sgpr 28
		.amdhsa_accum_offset 28
		.amdhsa_reserve_vcc 1
		.amdhsa_reserve_flat_scratch 0
		.amdhsa_float_round_mode_32 0
		.amdhsa_float_round_mode_16_64 0
		.amdhsa_float_denorm_mode_32 3
		.amdhsa_float_denorm_mode_16_64 3
		.amdhsa_dx10_clamp 1
		.amdhsa_ieee_mode 1
		.amdhsa_fp16_overflow 0
		.amdhsa_tg_split 0
		.amdhsa_exception_fp_ieee_invalid_op 0
		.amdhsa_exception_fp_denorm_src 0
		.amdhsa_exception_fp_ieee_div_zero 0
		.amdhsa_exception_fp_ieee_overflow 0
		.amdhsa_exception_fp_ieee_underflow 0
		.amdhsa_exception_fp_ieee_inexact 0
		.amdhsa_exception_int_div_zero 0
	.end_amdhsa_kernel
	.section	.text._ZL18rocblas_trtri_fillILi128E19rocblas_complex_numIfEPKPS1_EvP15_rocblas_handle13rocblas_fill_ililT1_llii,"axG",@progbits,_ZL18rocblas_trtri_fillILi128E19rocblas_complex_numIfEPKPS1_EvP15_rocblas_handle13rocblas_fill_ililT1_llii,comdat
.Lfunc_end24:
	.size	_ZL18rocblas_trtri_fillILi128E19rocblas_complex_numIfEPKPS1_EvP15_rocblas_handle13rocblas_fill_ililT1_llii, .Lfunc_end24-_ZL18rocblas_trtri_fillILi128E19rocblas_complex_numIfEPKPS1_EvP15_rocblas_handle13rocblas_fill_ililT1_llii
                                        ; -- End function
	.section	.AMDGPU.csdata,"",@progbits
; Kernel info:
; codeLenInByte = 1968
; NumSgprs: 32
; NumVgprs: 26
; NumAgprs: 0
; TotalNumVgprs: 26
; ScratchSize: 0
; MemoryBound: 0
; FloatMode: 240
; IeeeMode: 1
; LDSByteSize: 0 bytes/workgroup (compile time only)
; SGPRBlocks: 3
; VGPRBlocks: 3
; NumSGPRsForWavesPerEU: 32
; NumVGPRsForWavesPerEU: 26
; AccumOffset: 28
; Occupancy: 8
; WaveLimiterHint : 0
; COMPUTE_PGM_RSRC2:SCRATCH_EN: 0
; COMPUTE_PGM_RSRC2:USER_SGPR: 6
; COMPUTE_PGM_RSRC2:TRAP_HANDLER: 0
; COMPUTE_PGM_RSRC2:TGID_X_EN: 1
; COMPUTE_PGM_RSRC2:TGID_Y_EN: 0
; COMPUTE_PGM_RSRC2:TGID_Z_EN: 1
; COMPUTE_PGM_RSRC2:TIDIG_COMP_CNT: 0
; COMPUTE_PGM_RSRC3_GFX90A:ACCUM_OFFSET: 6
; COMPUTE_PGM_RSRC3_GFX90A:TG_SPLIT: 0
	.section	.text._ZL26rocblas_trtri_small_kernelILi16E19rocblas_complex_numIfEPKPKS1_PKPS1_Ev13rocblas_fill_17rocblas_diagonal_iT1_lillT2_lilli,"axG",@progbits,_ZL26rocblas_trtri_small_kernelILi16E19rocblas_complex_numIfEPKPKS1_PKPS1_Ev13rocblas_fill_17rocblas_diagonal_iT1_lillT2_lilli,comdat
	.globl	_ZL26rocblas_trtri_small_kernelILi16E19rocblas_complex_numIfEPKPKS1_PKPS1_Ev13rocblas_fill_17rocblas_diagonal_iT1_lillT2_lilli ; -- Begin function _ZL26rocblas_trtri_small_kernelILi16E19rocblas_complex_numIfEPKPKS1_PKPS1_Ev13rocblas_fill_17rocblas_diagonal_iT1_lillT2_lilli
	.p2align	8
	.type	_ZL26rocblas_trtri_small_kernelILi16E19rocblas_complex_numIfEPKPKS1_PKPS1_Ev13rocblas_fill_17rocblas_diagonal_iT1_lillT2_lilli,@function
_ZL26rocblas_trtri_small_kernelILi16E19rocblas_complex_numIfEPKPKS1_PKPS1_Ev13rocblas_fill_17rocblas_diagonal_iT1_lillT2_lilli: ; @_ZL26rocblas_trtri_small_kernelILi16E19rocblas_complex_numIfEPKPKS1_PKPS1_Ev13rocblas_fill_17rocblas_diagonal_iT1_lillT2_lilli
; %bb.0:
	s_load_dwordx4 s[8:11], s[4:5], 0x0
	s_waitcnt lgkmcnt(0)
	s_cmp_lt_i32 s10, 1
	s_cbranch_scc1 .LBB25_53
; %bb.1:
	s_load_dwordx4 s[16:19], s[4:5], 0x30
	s_load_dwordx2 s[20:21], s[4:5], 0x40
	s_mov_b32 s0, s7
	s_mov_b32 s1, 0
	s_lshl_b64 s[26:27], s[0:1], 3
	s_waitcnt lgkmcnt(0)
	s_add_u32 s0, s18, s26
	s_addc_u32 s1, s19, s27
	s_load_dwordx2 s[18:19], s[0:1], 0x0
	v_cmp_le_u32_e64 s[2:3], s10, v0
	v_cmp_gt_u32_e64 s[0:1], s10, v0
	s_and_saveexec_b64 s[22:23], s[0:1]
	s_cbranch_execz .LBB25_14
; %bb.2:
	s_load_dwordx4 s[12:15], s[4:5], 0x10
	s_load_dword s24, s[4:5], 0x20
	s_mul_i32 s7, s6, s17
	s_mul_hi_u32 s11, s6, s16
	s_mul_i32 s16, s6, s16
	s_waitcnt lgkmcnt(0)
	s_add_u32 s12, s12, s26
	s_addc_u32 s13, s13, s27
	s_load_dwordx2 s[12:13], s[12:13], 0x0
	s_add_i32 s17, s11, s7
	s_cmpk_lg_i32 s8, 0x7a
	s_mov_b64 s[26:27], -1
	s_cbranch_scc0 .LBB25_6
; %bb.3:
	s_ashr_i32 s25, s24, 31
	s_lshl_b32 s7, s10, 3
	s_ashr_i32 s11, s10, 31
	s_add_u32 s26, s10, -1
	s_addc_u32 s11, s11, -1
	s_mul_i32 s27, s26, s25
	s_mul_hi_u32 s28, s26, s24
	s_add_i32 s27, s28, s27
	s_mul_i32 s11, s11, s24
	s_add_i32 s27, s27, s11
	s_mul_i32 s26, s26, s24
	s_lshl_b64 s[26:27], s[26:27], 3
	s_lshl_b64 s[28:29], s[16:17], 3
	s_add_u32 s11, s26, s28
	s_addc_u32 s28, s27, s29
	s_lshl_b64 s[26:27], s[14:15], 3
	s_add_u32 s11, s11, s26
	s_addc_u32 s26, s28, s27
	s_waitcnt lgkmcnt(0)
	s_add_u32 s11, s12, s11
	v_lshlrev_b32_e32 v2, 3, v0
	s_addc_u32 s26, s13, s26
	s_lshl_b64 s[28:29], s[24:25], 3
	v_sub_u32_e32 v1, s7, v2
	v_add_co_u32_e32 v2, vcc, s11, v2
	s_sub_u32 s11, 0, s28
	v_mov_b32_e32 v3, s26
	s_subb_u32 s25, 0, s29
	v_add_u32_e32 v1, -8, v1
	v_addc_co_u32_e32 v3, vcc, 0, v3, vcc
	s_mov_b64 s[26:27], 0
	v_mov_b32_e32 v4, s25
	s_mov_b32 s25, s10
.LBB25_4:                               ; =>This Inner Loop Header: Depth=1
	global_load_dwordx2 v[6:7], v[2:3], off
	v_add_co_u32_e32 v2, vcc, s11, v2
	s_add_i32 s25, s25, -1
	v_addc_co_u32_e32 v3, vcc, v3, v4, vcc
	v_cmp_le_i32_e32 vcc, s25, v0
	s_or_b64 s[26:27], vcc, s[26:27]
	s_waitcnt vmcnt(0)
	ds_write_b64 v1, v[6:7]
	v_add_u32_e32 v1, s7, v1
	s_andn2_b64 exec, exec, s[26:27]
	s_cbranch_execnz .LBB25_4
; %bb.5:
	s_or_b64 exec, exec, s[26:27]
	s_mov_b64 s[26:27], 0
.LBB25_6:
	s_and_b64 vcc, exec, s[26:27]
	s_cbranch_vccz .LBB25_14
; %bb.7:
	v_mov_b32_e32 v1, 0
	s_ashr_i32 s25, s24, 31
	v_add_u32_e32 v4, 1, v0
	v_cmp_lt_u32_e32 vcc, 2, v0
	s_and_saveexec_b64 s[26:27], vcc
	s_cbranch_execz .LBB25_11
; %bb.8:
	s_lshl_b64 s[28:29], s[14:15], 3
	s_waitcnt lgkmcnt(0)
	s_add_u32 s7, s12, s28
	s_addc_u32 s11, s13, s29
	s_lshl_b64 s[28:29], s[16:17], 3
	s_add_u32 s7, s7, s28
	s_addc_u32 s11, s11, s29
	v_lshlrev_b32_e32 v5, 3, v0
	v_mov_b32_e32 v1, s11
	v_add_co_u32_e32 v2, vcc, s7, v5
	s_mul_hi_i32 s41, s24, 24
	s_lshl_b64 s[28:29], s[24:25], 5
	s_lshl_b64 s[30:31], s[24:25], 4
	;; [unrolled: 1-line block ×3, first 2 shown]
	v_addc_co_u32_e32 v3, vcc, 0, v1, vcc
	v_and_b32_e32 v1, 28, v4
	s_mul_i32 s7, s24, 24
	s_lshl_b32 s11, s10, 3
	s_lshl_b32 s33, s10, 5
	;; [unrolled: 1-line block ×3, first 2 shown]
	s_mul_i32 s39, s10, 24
	s_mov_b32 s40, 0
	s_mov_b64 s[36:37], 0
	v_mov_b32_e32 v6, s35
	v_mov_b32_e32 v7, s31
	;; [unrolled: 1-line block ×4, first 2 shown]
.LBB25_9:                               ; =>This Inner Loop Header: Depth=1
	v_add_co_u32_e32 v12, vcc, s34, v2
	v_addc_co_u32_e32 v13, vcc, v3, v6, vcc
	v_add_co_u32_e32 v14, vcc, s30, v2
	v_addc_co_u32_e32 v15, vcc, v3, v7, vcc
	global_load_dwordx2 v[10:11], v[2:3], off
	v_add_co_u32_e32 v16, vcc, s7, v2
	v_addc_co_u32_e32 v17, vcc, v3, v8, vcc
	global_load_dwordx2 v[18:19], v[12:13], off
	global_load_dwordx2 v[20:21], v[14:15], off
	;; [unrolled: 1-line block ×3, first 2 shown]
	v_add_co_u32_e32 v2, vcc, s28, v2
	s_add_i32 s40, s40, 4
	v_addc_co_u32_e32 v3, vcc, v3, v9, vcc
	v_cmp_eq_u32_e32 vcc, s40, v1
	v_add_u32_e32 v12, s11, v5
	v_add_u32_e32 v13, s38, v5
	;; [unrolled: 1-line block ×3, first 2 shown]
	s_or_b64 s[36:37], vcc, s[36:37]
	s_waitcnt vmcnt(3)
	ds_write_b64 v5, v[10:11]
	v_add_u32_e32 v5, s33, v5
	s_waitcnt vmcnt(2)
	ds_write_b64 v12, v[18:19]
	s_waitcnt vmcnt(1)
	ds_write_b64 v13, v[20:21]
	;; [unrolled: 2-line block ×3, first 2 shown]
	s_andn2_b64 exec, exec, s[36:37]
	s_cbranch_execnz .LBB25_9
; %bb.10:
	s_or_b64 exec, exec, s[36:37]
.LBB25_11:
	s_or_b64 exec, exec, s[26:27]
	v_and_b32_e32 v4, 3, v4
	v_cmp_ne_u32_e32 vcc, 0, v4
	s_and_b64 exec, exec, vcc
	s_cbranch_execz .LBB25_14
; %bb.12:
	v_mul_lo_u32 v2, v1, s10
	s_lshl_b32 s7, s10, 3
	s_lshl_b64 s[16:17], s[16:17], 3
	s_lshl_b64 s[14:15], s[14:15], 3
	v_add_lshl_u32 v5, v0, v2, 3
	v_mad_i64_i32 v[2:3], s[26:27], s24, v1, 0
	s_add_u32 s11, s14, s16
	v_lshlrev_b64 v[2:3], 3, v[2:3]
	s_addc_u32 s14, s15, s17
	v_mov_b32_e32 v1, s14
	v_add_co_u32_e32 v2, vcc, s11, v2
	v_addc_co_u32_e32 v1, vcc, v1, v3, vcc
	v_lshlrev_b32_e32 v3, 3, v0
	v_add_co_u32_e32 v2, vcc, v2, v3
	v_addc_co_u32_e32 v1, vcc, 0, v1, vcc
	s_waitcnt lgkmcnt(0)
	v_mov_b32_e32 v3, s13
	v_add_co_u32_e32 v2, vcc, s12, v2
	s_lshl_b64 s[12:13], s[24:25], 3
	v_addc_co_u32_e32 v3, vcc, v3, v1, vcc
	s_mov_b64 s[14:15], 0
	v_mov_b32_e32 v1, s13
.LBB25_13:                              ; =>This Inner Loop Header: Depth=1
	global_load_dwordx2 v[6:7], v[2:3], off
	v_add_co_u32_e32 v2, vcc, s12, v2
	v_addc_co_u32_e32 v3, vcc, v3, v1, vcc
	v_add_u32_e32 v4, -1, v4
	v_cmp_eq_u32_e32 vcc, 0, v4
	s_or_b64 s[14:15], vcc, s[14:15]
	s_waitcnt vmcnt(0)
	ds_write_b64 v5, v[6:7]
	v_add_u32_e32 v5, s7, v5
	s_andn2_b64 exec, exec, s[14:15]
	s_cbranch_execnz .LBB25_13
.LBB25_14:
	s_or_b64 exec, exec, s[22:23]
	s_waitcnt lgkmcnt(0)
	; wave barrier
	s_waitcnt lgkmcnt(0)
                                        ; implicit-def: $vgpr2
	s_waitcnt lgkmcnt(0)
	s_and_saveexec_b64 s[12:13], s[2:3]
	s_xor_b64 s[2:3], exec, s[12:13]
; %bb.15:
	v_mad_u64_u32 v[2:3], s[12:13], v0, s10, v[0:1]
; %bb.16:
	s_andn2_saveexec_b64 s[12:13], s[2:3]
	s_cbranch_execz .LBB25_29
; %bb.17:
	v_mad_u64_u32 v[2:3], s[2:3], v0, s10, v[0:1]
	s_cmpk_lg_i32 s9, 0x84
	v_lshlrev_b32_e32 v1, 3, v2
	s_cbranch_scc0 .LBB25_27
; %bb.18:
	ds_read_b64 v[4:5], v1
	s_waitcnt lgkmcnt(0)
	v_cmp_neq_f32_e32 vcc, 0, v4
	v_cmp_neq_f32_e64 s[2:3], 0, v5
	s_or_b64 s[2:3], vcc, s[2:3]
	s_and_saveexec_b64 s[14:15], s[2:3]
	s_xor_b64 s[2:3], exec, s[14:15]
	s_cbranch_execz .LBB25_24
; %bb.19:
	v_cmp_gt_f32_e32 vcc, 0, v5
	v_cndmask_b32_e64 v3, v5, -v5, vcc
	v_cmp_gt_f32_e32 vcc, 0, v4
	v_cndmask_b32_e64 v6, v4, -v4, vcc
	v_cmp_ngt_f32_e32 vcc, v6, v3
                                        ; implicit-def: $vgpr6_vgpr7
	s_and_saveexec_b64 s[14:15], vcc
	s_xor_b64 s[14:15], exec, s[14:15]
	s_cbranch_execz .LBB25_21
; %bb.20:
	v_div_scale_f32 v3, s[16:17], v5, v5, v4
	v_rcp_f32_e32 v6, v3
	v_div_scale_f32 v7, vcc, v4, v5, v4
	v_fma_f32 v8, -v3, v6, 1.0
	v_fmac_f32_e32 v6, v8, v6
	v_mul_f32_e32 v8, v7, v6
	v_fma_f32 v9, -v3, v8, v7
	v_fmac_f32_e32 v8, v9, v6
	v_fma_f32 v3, -v3, v8, v7
	v_div_fmas_f32 v3, v3, v6, v8
	v_div_fixup_f32 v3, v3, v5, v4
	v_fmac_f32_e32 v5, v4, v3
	v_div_scale_f32 v4, s[16:17], v5, v5, 1.0
	v_rcp_f32_e32 v6, v4
	v_fma_f32 v7, -v4, v6, 1.0
	v_fmac_f32_e32 v6, v7, v6
	v_div_scale_f32 v7, vcc, 1.0, v5, 1.0
	v_mul_f32_e32 v8, v7, v6
	v_fma_f32 v9, -v4, v8, v7
	v_fmac_f32_e32 v8, v9, v6
	v_fma_f32 v4, -v4, v8, v7
	v_div_fmas_f32 v4, v4, v6, v8
	v_div_fixup_f32 v4, v4, v5, 1.0
	v_mul_f32_e32 v6, v3, v4
	v_xor_b32_e32 v7, 0x80000000, v4
                                        ; implicit-def: $vgpr4_vgpr5
.LBB25_21:
	s_andn2_saveexec_b64 s[14:15], s[14:15]
	s_cbranch_execz .LBB25_23
; %bb.22:
	v_div_scale_f32 v3, s[16:17], v4, v4, v5
	v_rcp_f32_e32 v6, v3
	v_div_scale_f32 v7, vcc, v5, v4, v5
	v_fma_f32 v8, -v3, v6, 1.0
	v_fmac_f32_e32 v6, v8, v6
	v_mul_f32_e32 v8, v7, v6
	v_fma_f32 v9, -v3, v8, v7
	v_fmac_f32_e32 v8, v9, v6
	v_fma_f32 v3, -v3, v8, v7
	v_div_fmas_f32 v3, v3, v6, v8
	v_div_fixup_f32 v3, v3, v4, v5
	v_fmac_f32_e32 v4, v5, v3
	v_div_scale_f32 v5, s[16:17], v4, v4, 1.0
	v_rcp_f32_e32 v6, v5
	v_fma_f32 v7, -v5, v6, 1.0
	v_fmac_f32_e32 v6, v7, v6
	v_div_scale_f32 v7, vcc, 1.0, v4, 1.0
	v_mul_f32_e32 v8, v7, v6
	v_fma_f32 v9, -v5, v8, v7
	v_fmac_f32_e32 v8, v9, v6
	v_fma_f32 v5, -v5, v8, v7
	v_div_fmas_f32 v5, v5, v6, v8
	v_div_fixup_f32 v6, v5, v4, 1.0
	v_mul_f32_e64 v7, v3, -v6
.LBB25_23:
	s_or_b64 exec, exec, s[14:15]
	ds_write_b64 v1, v[6:7]
.LBB25_24:
	s_andn2_saveexec_b64 s[2:3], s[2:3]
	s_cbranch_execz .LBB25_26
; %bb.25:
	v_mov_b32_e32 v4, 1.0
	v_mov_b32_e32 v5, 0
	ds_write_b64 v1, v[4:5]
.LBB25_26:
	s_or_b64 exec, exec, s[2:3]
	s_cbranch_execz .LBB25_28
	s_branch .LBB25_29
.LBB25_27:
.LBB25_28:
	v_mov_b32_e32 v4, 1.0
	v_mov_b32_e32 v5, 0
	ds_write_b64 v1, v[4:5]
.LBB25_29:
	s_or_b64 exec, exec, s[12:13]
	s_lshl_b32 s11, s10, 3
	v_lshlrev_b32_e32 v1, 3, v2
	s_mov_b32 s7, 8
	s_add_i32 s9, s11, 8
	v_add_lshl_u32 v2, v0, s10, 3
	s_mov_b32 s12, 0
	s_waitcnt lgkmcnt(0)
	; wave barrier
	s_waitcnt lgkmcnt(0)
	s_branch .LBB25_31
.LBB25_30:                              ;   in Loop: Header=BB25_31 Depth=1
	s_add_i32 s7, s7, s9
	s_cmp_eq_u32 s12, s10
	v_add_u32_e32 v2, s11, v2
	s_waitcnt lgkmcnt(0)
	; wave barrier
	s_cbranch_scc1 .LBB25_40
.LBB25_31:                              ; =>This Loop Header: Depth=1
                                        ;     Child Loop BB25_36 Depth 2
	s_mul_i32 s13, s12, s10
	v_cmp_lt_u32_e32 vcc, s12, v0
	v_mov_b32_e32 v4, 0
	v_add_lshl_u32 v3, s13, v0, 3
	v_mov_b32_e32 v5, 0
	s_and_saveexec_b64 s[2:3], vcc
	s_cbranch_execz .LBB25_33
; %bb.32:                               ;   in Loop: Header=BB25_31 Depth=1
	s_add_i32 s13, s13, s12
	s_lshl_b32 s13, s13, 3
	v_mov_b32_e32 v6, s13
	ds_read_b64 v[4:5], v3
	ds_read_b64 v[6:7], v6
	s_waitcnt lgkmcnt(0)
	v_mul_f32_e32 v8, v7, v5
	v_mul_f32_e32 v5, v6, v5
	v_fma_f32 v6, v6, v4, -v8
	v_fmac_f32_e32 v5, v7, v4
	v_add_f32_e32 v4, 0, v6
	v_add_f32_e32 v5, 0, v5
.LBB25_33:                              ;   in Loop: Header=BB25_31 Depth=1
	s_or_b64 exec, exec, s[2:3]
	s_add_i32 s12, s12, 1
	s_cmp_ge_i32 s12, s10
	s_waitcnt lgkmcnt(0)
	; wave barrier
	s_cbranch_scc1 .LBB25_30
; %bb.34:                               ;   in Loop: Header=BB25_31 Depth=1
	v_mov_b32_e32 v6, v2
	s_mov_b32 s13, s7
	s_mov_b32 s14, s12
	s_branch .LBB25_36
.LBB25_35:                              ;   in Loop: Header=BB25_36 Depth=2
	s_or_b64 exec, exec, s[2:3]
	s_add_i32 s14, s14, 1
	s_add_i32 s13, s13, 8
	s_cmp_ge_i32 s14, s10
	v_add_u32_e32 v6, s11, v6
	s_waitcnt lgkmcnt(0)
	; wave barrier
	s_cbranch_scc1 .LBB25_30
.LBB25_36:                              ;   Parent Loop BB25_31 Depth=1
                                        ; =>  This Inner Loop Header: Depth=2
	v_cmp_eq_u32_e32 vcc, s14, v0
	s_and_saveexec_b64 s[2:3], vcc
	s_cbranch_execz .LBB25_38
; %bb.37:                               ;   in Loop: Header=BB25_36 Depth=2
	ds_read_b64 v[8:9], v1
	v_sub_f32_e32 v7, 0, v4
	s_waitcnt lgkmcnt(0)
	v_mul_f32_e32 v10, v5, v9
	v_mul_f32_e32 v11, v5, v8
	v_fmac_f32_e32 v10, v7, v8
	v_fma_f32 v11, -v4, v9, -v11
	ds_write_b64 v3, v[10:11]
.LBB25_38:                              ;   in Loop: Header=BB25_36 Depth=2
	s_or_b64 exec, exec, s[2:3]
	v_cmp_lt_u32_e32 vcc, s14, v0
	s_waitcnt lgkmcnt(0)
	; wave barrier
	s_waitcnt lgkmcnt(0)
	s_and_saveexec_b64 s[2:3], vcc
	s_cbranch_execz .LBB25_35
; %bb.39:                               ;   in Loop: Header=BB25_36 Depth=2
	v_mov_b32_e32 v7, s13
	ds_read_b64 v[8:9], v6
	ds_read_b64 v[10:11], v7
	s_waitcnt lgkmcnt(0)
	v_mul_f32_e32 v7, v11, v9
	v_mul_f32_e32 v9, v10, v9
	v_fma_f32 v7, v10, v8, -v7
	v_fmac_f32_e32 v9, v11, v8
	v_add_f32_e32 v4, v4, v7
	v_add_f32_e32 v5, v5, v9
	s_branch .LBB25_35
.LBB25_40:
	s_and_saveexec_b64 s[2:3], s[0:1]
	s_cbranch_execz .LBB25_53
; %bb.41:
	s_load_dwordx2 s[2:3], s[4:5], 0x58
	s_load_dword s0, s[4:5], 0x48
	s_mov_b64 s[4:5], -1
	v_lshlrev_b32_e32 v1, 3, v0
	s_waitcnt lgkmcnt(0)
	s_mul_i32 s1, s6, s3
	s_mul_hi_u32 s3, s6, s2
	s_add_i32 s3, s3, s1
	s_mul_i32 s2, s6, s2
	s_cmpk_lg_i32 s8, 0x7a
	s_cbranch_scc0 .LBB25_45
; %bb.42:
	s_add_i32 s6, s10, -1
	s_ashr_i32 s1, s0, 31
	s_mul_i32 s7, s1, s6
	s_mul_hi_u32 s8, s0, s6
	s_add_i32 s7, s8, s7
	s_mul_i32 s6, s0, s6
	s_lshl_b64 s[4:5], s[2:3], 3
	s_lshl_b64 s[6:7], s[6:7], 3
	s_add_u32 s6, s4, s6
	s_addc_u32 s7, s5, s7
	s_lshl_b64 s[4:5], s[20:21], 3
	s_add_u32 s4, s6, s4
	s_addc_u32 s5, s7, s5
	s_add_u32 s4, s18, s4
	s_addc_u32 s5, s19, s5
	s_lshl_b64 s[6:7], s[0:1], 3
	v_lshlrev_b32_e32 v4, 3, v0
	s_sub_u32 s1, 0, s6
	v_mov_b32_e32 v3, s5
	v_add_co_u32_e32 v2, vcc, s4, v4
	s_subb_u32 s6, 0, s7
	v_sub_u32_e32 v4, s11, v4
	v_addc_co_u32_e32 v3, vcc, 0, v3, vcc
	s_mov_b64 s[4:5], 0
	v_add_u32_e32 v4, -8, v4
	v_mov_b32_e32 v5, s6
	s_mov_b32 s6, s10
.LBB25_43:                              ; =>This Inner Loop Header: Depth=1
	ds_read_b64 v[6:7], v4
	s_add_i32 s6, s6, -1
	v_cmp_le_i32_e32 vcc, s6, v0
	s_or_b64 s[4:5], vcc, s[4:5]
	v_add_u32_e32 v4, s11, v4
	s_waitcnt lgkmcnt(0)
	global_store_dwordx2 v[2:3], v[6:7], off
	v_add_co_u32_e32 v2, vcc, s1, v2
	v_addc_co_u32_e32 v3, vcc, v3, v5, vcc
	s_andn2_b64 exec, exec, s[4:5]
	s_cbranch_execnz .LBB25_43
; %bb.44:
	s_or_b64 exec, exec, s[4:5]
	s_mov_b64 s[4:5], 0
.LBB25_45:
	s_and_b64 vcc, exec, s[4:5]
	s_cbranch_vccz .LBB25_53
; %bb.46:
	v_mov_b32_e32 v4, 0
	s_ashr_i32 s1, s0, 31
	v_add_u32_e32 v5, 1, v0
	v_cmp_lt_u32_e32 vcc, 2, v0
	s_and_saveexec_b64 s[4:5], vcc
	s_cbranch_execz .LBB25_50
; %bb.47:
	s_lshl_b64 s[6:7], s[20:21], 3
	s_add_u32 s8, s18, s6
	s_addc_u32 s9, s19, s7
	s_lshl_b64 s[6:7], s[2:3], 3
	s_add_u32 s6, s8, s6
	s_addc_u32 s7, s9, s7
	v_mov_b32_e32 v3, s7
	v_add_co_u32_e32 v2, vcc, s6, v1
	s_mul_hi_i32 s25, s0, 24
	s_lshl_b64 s[6:7], s[0:1], 5
	s_lshl_b64 s[8:9], s[0:1], 4
	;; [unrolled: 1-line block ×3, first 2 shown]
	v_addc_co_u32_e32 v3, vcc, 0, v3, vcc
	v_and_b32_e32 v4, 28, v5
	s_mul_i32 s16, s0, 24
	s_lshl_b32 s17, s10, 5
	s_lshl_b32 s22, s10, 4
	s_mul_i32 s23, s10, 24
	s_mov_b32 s24, 0
	s_mov_b64 s[14:15], 0
	v_mov_b32_e32 v6, s13
	v_mov_b32_e32 v7, s9
	;; [unrolled: 1-line block ×5, first 2 shown]
.LBB25_48:                              ; =>This Inner Loop Header: Depth=1
	v_add_co_u32_e32 v14, vcc, s12, v2
	v_addc_co_u32_e32 v15, vcc, v3, v6, vcc
	ds_read_b64 v[12:13], v10
	v_add_co_u32_e32 v16, vcc, s8, v2
	v_add_u32_e32 v11, s11, v10
	v_add_u32_e32 v22, s22, v10
	v_addc_co_u32_e32 v17, vcc, v3, v7, vcc
	v_add_u32_e32 v24, s23, v10
	v_add_co_u32_e32 v18, vcc, s16, v2
	ds_read_b64 v[20:21], v11
	ds_read_b64 v[22:23], v22
	;; [unrolled: 1-line block ×3, first 2 shown]
	v_addc_co_u32_e32 v19, vcc, v3, v8, vcc
	s_add_i32 s24, s24, 4
	v_cmp_eq_u32_e32 vcc, s24, v4
	s_or_b64 s[14:15], vcc, s[14:15]
	s_waitcnt lgkmcnt(3)
	global_store_dwordx2 v[2:3], v[12:13], off
	v_add_co_u32_e32 v2, vcc, s6, v2
	v_add_u32_e32 v10, s17, v10
	v_addc_co_u32_e32 v3, vcc, v3, v9, vcc
	s_waitcnt lgkmcnt(2)
	global_store_dwordx2 v[14:15], v[20:21], off
	s_waitcnt lgkmcnt(1)
	global_store_dwordx2 v[16:17], v[22:23], off
	;; [unrolled: 2-line block ×3, first 2 shown]
	s_andn2_b64 exec, exec, s[14:15]
	s_cbranch_execnz .LBB25_48
; %bb.49:
	s_or_b64 exec, exec, s[14:15]
.LBB25_50:
	s_or_b64 exec, exec, s[4:5]
	v_and_b32_e32 v5, 3, v5
	v_cmp_ne_u32_e32 vcc, 0, v5
	s_and_b64 exec, exec, vcc
	s_cbranch_execz .LBB25_53
; %bb.51:
	v_mad_i64_i32 v[2:3], s[4:5], s0, v4, 0
	s_lshl_b64 s[2:3], s[2:3], 3
	s_lshl_b64 s[4:5], s[20:21], 3
	s_add_u32 s2, s4, s2
	v_lshlrev_b64 v[2:3], 3, v[2:3]
	s_addc_u32 s3, s5, s3
	v_mov_b32_e32 v6, s3
	v_add_co_u32_e32 v2, vcc, s2, v2
	v_addc_co_u32_e32 v3, vcc, v6, v3, vcc
	v_add_co_u32_e32 v1, vcc, v2, v1
	v_addc_co_u32_e32 v3, vcc, 0, v3, vcc
	v_mov_b32_e32 v6, s19
	v_add_co_u32_e32 v2, vcc, s18, v1
	s_lshl_b64 s[0:1], s[0:1], 3
	v_mul_lo_u32 v1, v4, s10
	v_addc_co_u32_e32 v3, vcc, v6, v3, vcc
	v_add_lshl_u32 v0, v0, v1, 3
	s_mov_b64 s[2:3], 0
	v_mov_b32_e32 v1, s1
.LBB25_52:                              ; =>This Inner Loop Header: Depth=1
	ds_read_b64 v[6:7], v0
	v_add_u32_e32 v5, -1, v5
	v_cmp_eq_u32_e32 vcc, 0, v5
	s_or_b64 s[2:3], vcc, s[2:3]
	v_add_u32_e32 v0, s11, v0
	s_waitcnt lgkmcnt(0)
	global_store_dwordx2 v[2:3], v[6:7], off
	v_add_co_u32_e32 v2, vcc, s0, v2
	v_addc_co_u32_e32 v3, vcc, v3, v1, vcc
	s_andn2_b64 exec, exec, s[2:3]
	s_cbranch_execnz .LBB25_52
.LBB25_53:
	s_endpgm
	.section	.rodata,"a",@progbits
	.p2align	6, 0x0
	.amdhsa_kernel _ZL26rocblas_trtri_small_kernelILi16E19rocblas_complex_numIfEPKPKS1_PKPS1_Ev13rocblas_fill_17rocblas_diagonal_iT1_lillT2_lilli
		.amdhsa_group_segment_fixed_size 2048
		.amdhsa_private_segment_fixed_size 0
		.amdhsa_kernarg_size 100
		.amdhsa_user_sgpr_count 6
		.amdhsa_user_sgpr_private_segment_buffer 1
		.amdhsa_user_sgpr_dispatch_ptr 0
		.amdhsa_user_sgpr_queue_ptr 0
		.amdhsa_user_sgpr_kernarg_segment_ptr 1
		.amdhsa_user_sgpr_dispatch_id 0
		.amdhsa_user_sgpr_flat_scratch_init 0
		.amdhsa_user_sgpr_kernarg_preload_length 0
		.amdhsa_user_sgpr_kernarg_preload_offset 0
		.amdhsa_user_sgpr_private_segment_size 0
		.amdhsa_uses_dynamic_stack 0
		.amdhsa_system_sgpr_private_segment_wavefront_offset 0
		.amdhsa_system_sgpr_workgroup_id_x 1
		.amdhsa_system_sgpr_workgroup_id_y 0
		.amdhsa_system_sgpr_workgroup_id_z 1
		.amdhsa_system_sgpr_workgroup_info 0
		.amdhsa_system_vgpr_workitem_id 0
		.amdhsa_next_free_vgpr 26
		.amdhsa_next_free_sgpr 42
		.amdhsa_accum_offset 28
		.amdhsa_reserve_vcc 1
		.amdhsa_reserve_flat_scratch 0
		.amdhsa_float_round_mode_32 0
		.amdhsa_float_round_mode_16_64 0
		.amdhsa_float_denorm_mode_32 3
		.amdhsa_float_denorm_mode_16_64 3
		.amdhsa_dx10_clamp 1
		.amdhsa_ieee_mode 1
		.amdhsa_fp16_overflow 0
		.amdhsa_tg_split 0
		.amdhsa_exception_fp_ieee_invalid_op 0
		.amdhsa_exception_fp_denorm_src 0
		.amdhsa_exception_fp_ieee_div_zero 0
		.amdhsa_exception_fp_ieee_overflow 0
		.amdhsa_exception_fp_ieee_underflow 0
		.amdhsa_exception_fp_ieee_inexact 0
		.amdhsa_exception_int_div_zero 0
	.end_amdhsa_kernel
	.section	.text._ZL26rocblas_trtri_small_kernelILi16E19rocblas_complex_numIfEPKPKS1_PKPS1_Ev13rocblas_fill_17rocblas_diagonal_iT1_lillT2_lilli,"axG",@progbits,_ZL26rocblas_trtri_small_kernelILi16E19rocblas_complex_numIfEPKPKS1_PKPS1_Ev13rocblas_fill_17rocblas_diagonal_iT1_lillT2_lilli,comdat
.Lfunc_end25:
	.size	_ZL26rocblas_trtri_small_kernelILi16E19rocblas_complex_numIfEPKPKS1_PKPS1_Ev13rocblas_fill_17rocblas_diagonal_iT1_lillT2_lilli, .Lfunc_end25-_ZL26rocblas_trtri_small_kernelILi16E19rocblas_complex_numIfEPKPKS1_PKPS1_Ev13rocblas_fill_17rocblas_diagonal_iT1_lillT2_lilli
                                        ; -- End function
	.section	.AMDGPU.csdata,"",@progbits
; Kernel info:
; codeLenInByte = 2380
; NumSgprs: 46
; NumVgprs: 26
; NumAgprs: 0
; TotalNumVgprs: 26
; ScratchSize: 0
; MemoryBound: 0
; FloatMode: 240
; IeeeMode: 1
; LDSByteSize: 2048 bytes/workgroup (compile time only)
; SGPRBlocks: 5
; VGPRBlocks: 3
; NumSGPRsForWavesPerEU: 46
; NumVGPRsForWavesPerEU: 26
; AccumOffset: 28
; Occupancy: 8
; WaveLimiterHint : 0
; COMPUTE_PGM_RSRC2:SCRATCH_EN: 0
; COMPUTE_PGM_RSRC2:USER_SGPR: 6
; COMPUTE_PGM_RSRC2:TRAP_HANDLER: 0
; COMPUTE_PGM_RSRC2:TGID_X_EN: 1
; COMPUTE_PGM_RSRC2:TGID_Y_EN: 0
; COMPUTE_PGM_RSRC2:TGID_Z_EN: 1
; COMPUTE_PGM_RSRC2:TIDIG_COMP_CNT: 0
; COMPUTE_PGM_RSRC3_GFX90A:ACCUM_OFFSET: 6
; COMPUTE_PGM_RSRC3_GFX90A:TG_SPLIT: 0
	.section	.text._ZL29rocblas_trtri_diagonal_kernelILi16E19rocblas_complex_numIfEPKPKS1_PKPS1_Ev13rocblas_fill_17rocblas_diagonal_iT1_lillT2_lilli,"axG",@progbits,_ZL29rocblas_trtri_diagonal_kernelILi16E19rocblas_complex_numIfEPKPKS1_PKPS1_Ev13rocblas_fill_17rocblas_diagonal_iT1_lillT2_lilli,comdat
	.globl	_ZL29rocblas_trtri_diagonal_kernelILi16E19rocblas_complex_numIfEPKPKS1_PKPS1_Ev13rocblas_fill_17rocblas_diagonal_iT1_lillT2_lilli ; -- Begin function _ZL29rocblas_trtri_diagonal_kernelILi16E19rocblas_complex_numIfEPKPKS1_PKPS1_Ev13rocblas_fill_17rocblas_diagonal_iT1_lillT2_lilli
	.p2align	8
	.type	_ZL29rocblas_trtri_diagonal_kernelILi16E19rocblas_complex_numIfEPKPKS1_PKPS1_Ev13rocblas_fill_17rocblas_diagonal_iT1_lillT2_lilli,@function
_ZL29rocblas_trtri_diagonal_kernelILi16E19rocblas_complex_numIfEPKPKS1_PKPS1_Ev13rocblas_fill_17rocblas_diagonal_iT1_lillT2_lilli: ; @_ZL29rocblas_trtri_diagonal_kernelILi16E19rocblas_complex_numIfEPKPKS1_PKPS1_Ev13rocblas_fill_17rocblas_diagonal_iT1_lillT2_lilli
; %bb.0:
	s_load_dwordx4 s[8:11], s[4:5], 0x0
	s_mov_b32 s0, s7
	s_waitcnt lgkmcnt(0)
	s_ashr_i32 s1, s10, 31
	s_lshr_b32 s1, s1, 27
	s_add_i32 s1, s10, s1
	s_ashr_i32 s1, s1, 5
	v_cvt_f32_u32_e32 v1, s1
	s_sub_i32 s2, 0, s1
	v_rcp_iflag_f32_e32 v1, v1
	v_mul_f32_e32 v1, 0x4f7ffffe, v1
	v_cvt_u32_f32_e32 v1, v1
	v_readfirstlane_b32 s3, v1
	s_mul_i32 s2, s2, s3
	s_mul_hi_u32 s2, s3, s2
	s_add_i32 s3, s3, s2
	s_mul_hi_u32 s2, s6, s3
	s_mul_i32 s3, s2, s1
	s_sub_i32 s3, s6, s3
	s_add_i32 s7, s2, 1
	s_sub_i32 s11, s3, s1
	s_cmp_ge_u32 s3, s1
	s_cselect_b32 s2, s7, s2
	s_cselect_b32 s3, s11, s3
	s_add_i32 s7, s2, 1
	s_cmp_ge_u32 s3, s1
	s_cselect_b32 s30, s7, s2
	s_mul_i32 s1, s30, s1
	s_sub_i32 s31, s6, s1
	s_lshl_b32 s2, s31, 4
	s_cmp_eq_u32 s10, s2
	s_mov_b32 s1, 0
	s_cbranch_scc1 .LBB26_110
; %bb.1:
	s_load_dwordx4 s[12:15], s[4:5], 0x10
	s_load_dwordx4 s[16:19], s[4:5], 0x30
	s_load_dwordx2 s[20:21], s[4:5], 0x40
	s_lshl_b64 s[0:1], s[0:1], 3
	v_mov_b32_e32 v2, v0
	s_waitcnt lgkmcnt(0)
	s_add_u32 s6, s12, s0
	s_addc_u32 s7, s13, s1
	s_add_u32 s0, s18, s0
	s_addc_u32 s1, s19, s1
	s_load_dwordx2 s[22:23], s[6:7], 0x0
	s_load_dwordx2 s[12:13], s[0:1], 0x0
	s_sub_i32 s29, s10, s2
	s_min_u32 s28, s29, 16
	s_lshl_b32 s24, s28, 1
	v_cmp_gt_u32_e64 s[6:7], s28, v0
	v_cmp_le_u32_e64 s[0:1], s28, v0
	v_cmp_gt_u32_e64 s[2:3], s24, v0
	v_cmp_le_u32_e32 vcc, s24, v0
	s_and_saveexec_b64 s[10:11], s[0:1]
	s_cbranch_execz .LBB26_7
; %bb.2:
                                        ; implicit-def: $vgpr2
	s_and_saveexec_b64 s[18:19], vcc
	s_xor_b64 s[18:19], exec, s[18:19]
; %bb.3:
	v_subrev_u32_e32 v2, s24, v0
; %bb.4:
	s_andn2_saveexec_b64 s[18:19], s[18:19]
; %bb.5:
	v_subrev_u32_e32 v2, s28, v0
; %bb.6:
	s_or_b64 exec, exec, s[18:19]
.LBB26_7:
	s_or_b64 exec, exec, s[10:11]
	s_load_dword s10, s[4:5], 0x20
	v_mov_b32_e32 v1, 0x1800
	v_mov_b32_e32 v3, 0x1000
	v_cndmask_b32_e64 v1, 0, v1, s[2:3]
	v_cndmask_b32_e64 v14, v1, v3, s[6:7]
	s_waitcnt lgkmcnt(0)
	s_ashr_i32 s11, s10, 31
	s_lshl_b64 s[6:7], s[10:11], 5
	s_add_u32 s6, s6, 32
	s_addc_u32 s7, s7, 0
	s_mul_i32 s7, s7, s31
	s_mul_hi_u32 s18, s6, s31
	s_add_i32 s7, s18, s7
	s_mul_i32 s17, s30, s17
	s_mul_hi_u32 s18, s30, s16
	s_mul_i32 s6, s6, s31
	s_add_i32 s17, s18, s17
	s_mul_i32 s16, s30, s16
	s_and_saveexec_b64 s[18:19], vcc
	s_xor_b64 s[18:19], exec, s[18:19]
	s_cbranch_execz .LBB26_17
; %bb.8:
	s_mul_i32 s24, s28, 3
	v_cmp_gt_u32_e32 vcc, s24, v0
	s_and_saveexec_b64 s[24:25], vcc
	s_cbranch_execz .LBB26_16
; %bb.9:
	s_cmpk_eq_i32 s8, 0x7a
	s_mov_b64 s[26:27], -1
	s_cbranch_scc1 .LBB26_13
; %bb.10:
	s_add_i32 s34, s28, -1
	s_mul_i32 s27, s28, s34
	s_lshl_b32 s27, s27, 3
	v_lshlrev_b32_e32 v1, 3, v2
	s_lshl_b32 s33, s28, 3
	s_add_i32 s26, s28, 1
	v_add3_u32 v1, s27, v1, v14
	s_sub_i32 s27, 0, s33
	s_lshl_b64 s[36:37], s[16:17], 3
	s_lshl_b64 s[38:39], s[6:7], 3
	s_mov_b32 s35, 0
	s_add_u32 s36, s36, s38
	s_addc_u32 s37, s37, s39
	s_lshl_b64 s[34:35], s[34:35], 3
	s_add_u32 s33, s33, s34
	s_addc_u32 s34, 0, s35
	s_mul_i32 s35, s33, s11
	s_mul_hi_u32 s38, s33, s10
	s_add_i32 s35, s38, s35
	s_mul_i32 s34, s34, s10
	s_add_i32 s35, s35, s34
	s_mul_i32 s33, s33, s10
	s_add_u32 s33, s36, s33
	s_addc_u32 s36, s37, s35
	s_lshl_b64 s[34:35], s[14:15], 3
	s_add_u32 s33, s33, s34
	s_addc_u32 s34, s36, s35
	s_add_u32 s33, s22, s33
	v_ashrrev_i32_e32 v3, 31, v2
	s_addc_u32 s34, s23, s34
	v_lshlrev_b64 v[4:5], 3, v[2:3]
	v_mov_b32_e32 v3, s34
	s_lshl_b64 s[34:35], s[10:11], 3
	v_add_co_u32_e32 v4, vcc, s33, v4
	s_sub_u32 s33, 0, s34
	s_subb_u32 s34, 0, s35
	v_addc_co_u32_e32 v5, vcc, v3, v5, vcc
	v_mov_b32_e32 v3, s34
.LBB26_11:                              ; =>This Inner Loop Header: Depth=1
	global_load_dwordx2 v[6:7], v[4:5], off
	s_add_i32 s26, s26, -1
	v_add_co_u32_e32 v4, vcc, s33, v4
	v_addc_co_u32_e32 v5, vcc, v5, v3, vcc
	s_cmp_gt_u32 s26, 1
	s_waitcnt vmcnt(0)
	ds_write_b64 v1, v[6:7]
	v_add_u32_e32 v1, s27, v1
	s_cbranch_scc1 .LBB26_11
; %bb.12:
	s_mov_b64 s[26:27], 0
.LBB26_13:
	s_and_b64 vcc, exec, s[26:27]
	s_cbranch_vccz .LBB26_16
; %bb.14:
	s_lshl_b64 s[26:27], s[14:15], 3
	s_add_u32 s33, s22, s26
	s_addc_u32 s34, s23, s27
	s_lshl_b64 s[26:27], s[6:7], 3
	s_add_u32 s33, s33, s26
	s_addc_u32 s34, s34, s27
	s_lshl_b64 s[26:27], s[16:17], 3
	v_add_u32_e32 v4, s28, v2
	s_add_u32 s26, s33, s26
	v_ashrrev_i32_e32 v5, 31, v4
	s_addc_u32 s27, s34, s27
	v_lshlrev_b64 v[4:5], 3, v[4:5]
	v_mov_b32_e32 v1, s27
	v_add_co_u32_e32 v4, vcc, s26, v4
	s_lshl_b64 s[26:27], s[10:11], 3
	v_addc_co_u32_e32 v5, vcc, v1, v5, vcc
	v_lshl_add_u32 v1, v2, 3, v14
	s_lshl_b32 s33, s28, 3
	v_mov_b32_e32 v3, s27
	s_mov_b32 s27, s28
.LBB26_15:                              ; =>This Inner Loop Header: Depth=1
	global_load_dwordx2 v[6:7], v[4:5], off
	s_add_i32 s27, s27, -1
	v_add_co_u32_e32 v4, vcc, s26, v4
	v_addc_co_u32_e32 v5, vcc, v5, v3, vcc
	s_cmp_eq_u32 s27, 0
	s_waitcnt vmcnt(0)
	ds_write_b64 v1, v[6:7]
	v_add_u32_e32 v1, s33, v1
	s_cbranch_scc0 .LBB26_15
.LBB26_16:
	s_or_b64 exec, exec, s[24:25]
.LBB26_17:
	s_andn2_saveexec_b64 s[18:19], s[18:19]
	s_cbranch_execz .LBB26_31
; %bb.18:
	v_pk_mov_b32 v[4:5], 0, 0
	s_and_saveexec_b64 s[24:25], s[0:1]
; %bb.19:
	s_add_u32 s26, s10, 1
	s_addc_u32 s27, s11, 0
	s_mul_i32 s27, s27, s28
	s_mul_hi_u32 s33, s26, s28
	s_add_i32 s27, s33, s27
	s_mul_i32 s26, s26, s28
	v_pk_mov_b32 v[4:5], s[26:27], s[26:27] op_sel:[0,1]
; %bb.20:
	s_or_b64 exec, exec, s[24:25]
	s_mov_b64 s[24:25], -1
	s_cmpk_lg_i32 s8, 0x7a
	v_lshlrev_b64 v[4:5], 3, v[4:5]
	s_cbranch_scc0 .LBB26_26
; %bb.21:
	s_add_i32 s26, s28, -1
	s_lshl_b32 s27, s28, 3
	s_lshl_b64 s[24:25], s[16:17], 3
	s_lshl_b64 s[34:35], s[6:7], 3
	s_add_u32 s33, s24, s34
	s_addc_u32 s34, s25, s35
	s_mul_i32 s24, s11, s26
	s_mul_hi_u32 s25, s10, s26
	s_add_i32 s25, s25, s24
	s_mul_i32 s24, s10, s26
	s_lshl_b64 s[24:25], s[24:25], 3
	s_add_u32 s33, s33, s24
	s_addc_u32 s34, s34, s25
	s_lshl_b64 s[24:25], s[14:15], 3
	s_add_u32 s24, s24, s33
	s_addc_u32 s25, s25, s34
	v_ashrrev_i32_e32 v3, 31, v2
	v_mov_b32_e32 v6, s25
	v_add_co_u32_e32 v8, vcc, s24, v4
	v_addc_co_u32_e32 v9, vcc, v6, v5, vcc
	v_lshlrev_b64 v[6:7], 3, v[2:3]
	v_add_co_u32_e32 v3, vcc, v8, v6
	s_lshl_b64 s[24:25], s[10:11], 3
	v_addc_co_u32_e32 v7, vcc, v9, v7, vcc
	s_sub_u32 s33, 0, s24
	v_sub_u32_e32 v1, s26, v2
	v_mov_b32_e32 v8, s23
	v_add_co_u32_e32 v6, vcc, s22, v3
	s_subb_u32 s24, 0, s25
	v_lshl_add_u32 v1, v1, 3, v14
	v_addc_co_u32_e32 v7, vcc, v8, v7, vcc
	v_mov_b32_e32 v3, s24
	s_branch .LBB26_23
.LBB26_22:                              ;   in Loop: Header=BB26_23 Depth=1
	s_or_b64 exec, exec, s[24:25]
	s_add_i32 s26, s26, -1
	v_add_co_u32_e32 v6, vcc, s33, v6
	s_waitcnt vmcnt(0)
	ds_write_b64 v1, v[8:9]
	v_add_u32_e32 v1, s27, v1
	s_cmp_eq_u32 s26, -1
	v_addc_co_u32_e32 v7, vcc, v7, v3, vcc
	s_cbranch_scc1 .LBB26_25
.LBB26_23:                              ; =>This Inner Loop Header: Depth=1
	v_cmp_ge_i32_e32 vcc, s26, v2
	v_mov_b32_e32 v8, 0
	v_mov_b32_e32 v9, 0
	s_and_saveexec_b64 s[24:25], vcc
	s_cbranch_execz .LBB26_22
; %bb.24:                               ;   in Loop: Header=BB26_23 Depth=1
	global_load_dwordx2 v[8:9], v[6:7], off
	s_branch .LBB26_22
.LBB26_25:
	s_mov_b64 s[24:25], 0
.LBB26_26:
	s_and_b64 vcc, exec, s[24:25]
	s_cbranch_vccz .LBB26_31
; %bb.27:
	s_lshl_b32 s24, s28, 3
	s_lshl_b64 s[16:17], s[16:17], 3
	s_lshl_b64 s[6:7], s[6:7], 3
	s_add_u32 s16, s16, s6
	s_addc_u32 s17, s17, s7
	s_lshl_b64 s[6:7], s[14:15], 3
	s_add_u32 s6, s6, s16
	s_addc_u32 s7, s7, s17
	v_ashrrev_i32_e32 v3, 31, v2
	v_mov_b32_e32 v6, s7
	v_add_co_u32_e32 v7, vcc, s6, v4
	v_addc_co_u32_e32 v6, vcc, v6, v5, vcc
	v_lshlrev_b64 v[4:5], 3, v[2:3]
	v_add_co_u32_e32 v3, vcc, v7, v4
	v_addc_co_u32_e32 v5, vcc, v6, v5, vcc
	v_mov_b32_e32 v6, s23
	v_add_co_u32_e32 v4, vcc, s22, v3
	s_lshl_b64 s[6:7], s[10:11], 3
	v_lshl_add_u32 v1, v2, 3, v14
	v_addc_co_u32_e32 v5, vcc, v6, v5, vcc
	s_mov_b32 s14, 0
	v_mov_b32_e32 v3, s7
	s_branch .LBB26_29
.LBB26_28:                              ;   in Loop: Header=BB26_29 Depth=1
	s_or_b64 exec, exec, s[10:11]
	s_add_i32 s14, s14, 1
	v_add_co_u32_e32 v4, vcc, s6, v4
	s_waitcnt vmcnt(0)
	ds_write_b64 v1, v[6:7]
	v_add_u32_e32 v1, s24, v1
	s_cmp_eq_u32 s28, s14
	v_addc_co_u32_e32 v5, vcc, v5, v3, vcc
	s_cbranch_scc1 .LBB26_31
.LBB26_29:                              ; =>This Inner Loop Header: Depth=1
	v_cmp_le_i32_e32 vcc, s14, v2
	v_mov_b32_e32 v6, 0
	v_mov_b32_e32 v7, 0
	s_and_saveexec_b64 s[10:11], vcc
	s_cbranch_execz .LBB26_28
; %bb.30:                               ;   in Loop: Header=BB26_29 Depth=1
	global_load_dwordx2 v[6:7], v[4:5], off
	s_branch .LBB26_28
.LBB26_31:
	s_or_b64 exec, exec, s[18:19]
	s_waitcnt lgkmcnt(0)
	s_barrier
	s_and_saveexec_b64 s[10:11], s[2:3]
	s_cbranch_execz .LBB26_44
; %bb.32:
	s_add_i32 s6, s28, 1
	v_mul_i32_i24_e32 v1, s6, v2
	s_cmpk_lg_i32 s9, 0x84
	v_lshl_add_u32 v1, v1, 3, v14
	s_mov_b64 s[6:7], -1
	s_cbranch_scc0 .LBB26_42
; %bb.33:
	ds_read_b64 v[4:5], v1
	s_waitcnt lgkmcnt(0)
	v_cmp_neq_f32_e32 vcc, 0, v4
	v_cmp_neq_f32_e64 s[6:7], 0, v5
	s_or_b64 s[6:7], vcc, s[6:7]
	s_and_saveexec_b64 s[14:15], s[6:7]
	s_xor_b64 s[6:7], exec, s[14:15]
	s_cbranch_execz .LBB26_39
; %bb.34:
	v_cmp_gt_f32_e32 vcc, 0, v5
	v_cndmask_b32_e64 v3, v5, -v5, vcc
	v_cmp_gt_f32_e32 vcc, 0, v4
	v_cndmask_b32_e64 v6, v4, -v4, vcc
	v_cmp_ngt_f32_e32 vcc, v6, v3
                                        ; implicit-def: $vgpr6_vgpr7
	s_and_saveexec_b64 s[14:15], vcc
	s_xor_b64 s[14:15], exec, s[14:15]
	s_cbranch_execz .LBB26_36
; %bb.35:
	v_div_scale_f32 v3, s[16:17], v5, v5, v4
	v_rcp_f32_e32 v6, v3
	v_div_scale_f32 v7, vcc, v4, v5, v4
	v_fma_f32 v8, -v3, v6, 1.0
	v_fmac_f32_e32 v6, v8, v6
	v_mul_f32_e32 v8, v7, v6
	v_fma_f32 v9, -v3, v8, v7
	v_fmac_f32_e32 v8, v9, v6
	v_fma_f32 v3, -v3, v8, v7
	v_div_fmas_f32 v3, v3, v6, v8
	v_div_fixup_f32 v3, v3, v5, v4
	v_fmac_f32_e32 v5, v4, v3
	v_div_scale_f32 v4, s[16:17], v5, v5, 1.0
	v_rcp_f32_e32 v6, v4
	v_fma_f32 v7, -v4, v6, 1.0
	v_fmac_f32_e32 v6, v7, v6
	v_div_scale_f32 v7, vcc, 1.0, v5, 1.0
	v_mul_f32_e32 v8, v7, v6
	v_fma_f32 v9, -v4, v8, v7
	v_fmac_f32_e32 v8, v9, v6
	v_fma_f32 v4, -v4, v8, v7
	v_div_fmas_f32 v4, v4, v6, v8
	v_div_fixup_f32 v4, v4, v5, 1.0
	v_mul_f32_e32 v6, v3, v4
	v_xor_b32_e32 v7, 0x80000000, v4
                                        ; implicit-def: $vgpr4_vgpr5
.LBB26_36:
	s_andn2_saveexec_b64 s[14:15], s[14:15]
	s_cbranch_execz .LBB26_38
; %bb.37:
	v_div_scale_f32 v3, s[16:17], v4, v4, v5
	v_rcp_f32_e32 v6, v3
	v_div_scale_f32 v7, vcc, v5, v4, v5
	v_fma_f32 v8, -v3, v6, 1.0
	v_fmac_f32_e32 v6, v8, v6
	v_mul_f32_e32 v8, v7, v6
	v_fma_f32 v9, -v3, v8, v7
	v_fmac_f32_e32 v8, v9, v6
	v_fma_f32 v3, -v3, v8, v7
	v_div_fmas_f32 v3, v3, v6, v8
	v_div_fixup_f32 v3, v3, v4, v5
	v_fmac_f32_e32 v4, v5, v3
	v_div_scale_f32 v5, s[16:17], v4, v4, 1.0
	v_rcp_f32_e32 v6, v5
	v_fma_f32 v7, -v5, v6, 1.0
	v_fmac_f32_e32 v6, v7, v6
	v_div_scale_f32 v7, vcc, 1.0, v4, 1.0
	v_mul_f32_e32 v8, v7, v6
	v_fma_f32 v9, -v5, v8, v7
	v_fmac_f32_e32 v8, v9, v6
	v_fma_f32 v5, -v5, v8, v7
	v_div_fmas_f32 v5, v5, v6, v8
	v_div_fixup_f32 v6, v5, v4, 1.0
	v_mul_f32_e64 v7, v3, -v6
.LBB26_38:
	s_or_b64 exec, exec, s[14:15]
	ds_write_b64 v1, v[6:7]
.LBB26_39:
	s_andn2_saveexec_b64 s[6:7], s[6:7]
	s_cbranch_execz .LBB26_41
; %bb.40:
	v_mov_b32_e32 v4, 1.0
	v_mov_b32_e32 v5, 0
	ds_write_b64 v1, v[4:5]
.LBB26_41:
	s_or_b64 exec, exec, s[6:7]
	s_mov_b64 s[6:7], 0
.LBB26_42:
	s_andn2_b64 vcc, exec, s[6:7]
	s_cbranch_vccnz .LBB26_44
; %bb.43:
	v_mov_b32_e32 v4, 1.0
	v_mov_b32_e32 v5, 0
	ds_write_b64 v1, v[4:5]
.LBB26_44:
	s_or_b64 exec, exec, s[10:11]
	s_waitcnt lgkmcnt(0)
	s_barrier
	s_and_saveexec_b64 s[6:7], s[2:3]
	s_cbranch_execz .LBB26_56
; %bb.45:
	s_add_i32 s9, s28, 1
	v_lshlrev_b32_e32 v5, 3, v2
	v_mul_i32_i24_e32 v3, s9, v2
	s_lshl_b32 s9, s28, 3
	v_add_u32_e32 v1, v14, v5
	v_lshl_add_u32 v3, v3, 3, v14
	v_add_u32_e32 v4, 8, v14
	s_add_i32 s14, s9, 8
	v_add3_u32 v5, v5, s9, v14
	s_mov_b32 s15, 0
	s_branch .LBB26_47
.LBB26_46:                              ;   in Loop: Header=BB26_47 Depth=1
	v_add_u32_e32 v4, s14, v4
	s_cmp_eq_u32 s15, s28
	v_add_u32_e32 v5, s9, v5
	s_cbranch_scc1 .LBB26_56
.LBB26_47:                              ; =>This Loop Header: Depth=1
                                        ;     Child Loop BB26_52 Depth 2
	v_cmp_lt_i32_e32 vcc, s15, v2
	v_mov_b32_e32 v6, 0
	s_mul_i32 s16, s15, s28
	v_mov_b32_e32 v7, 0
	s_and_saveexec_b64 s[10:11], vcc
	s_cbranch_execz .LBB26_49
; %bb.48:                               ;   in Loop: Header=BB26_47 Depth=1
	s_lshl_b32 s17, s16, 3
	s_lshl_b32 s18, s15, 3
	v_add_u32_e32 v6, s17, v1
	s_add_i32 s17, s17, s18
	v_add_u32_e32 v8, s17, v14
	ds_read_b64 v[6:7], v6
	ds_read_b64 v[8:9], v8
	s_waitcnt lgkmcnt(0)
	v_mul_f32_e32 v10, v9, v7
	v_mul_f32_e32 v7, v8, v7
	v_fma_f32 v8, v8, v6, -v10
	v_fmac_f32_e32 v7, v9, v6
	v_add_f32_e32 v6, 0, v8
	v_add_f32_e32 v7, 0, v7
.LBB26_49:                              ;   in Loop: Header=BB26_47 Depth=1
	s_or_b64 exec, exec, s[10:11]
	s_add_i32 s15, s15, 1
	s_cmp_ge_u32 s15, s28
	s_cbranch_scc1 .LBB26_46
; %bb.50:                               ;   in Loop: Header=BB26_47 Depth=1
	v_lshl_add_u32 v8, s16, 3, v1
	v_mov_b32_e32 v9, v5
	v_mov_b32_e32 v10, v4
	s_mov_b32 s16, s15
	s_branch .LBB26_52
.LBB26_51:                              ;   in Loop: Header=BB26_52 Depth=2
	s_or_b64 exec, exec, s[10:11]
	s_add_i32 s16, s16, 1
	v_add_u32_e32 v10, 8, v10
	s_cmp_ge_u32 s16, s28
	v_add_u32_e32 v9, s9, v9
	s_cbranch_scc1 .LBB26_46
.LBB26_52:                              ;   Parent Loop BB26_47 Depth=1
                                        ; =>  This Inner Loop Header: Depth=2
	v_cmp_eq_u32_e32 vcc, s16, v2
	s_and_saveexec_b64 s[10:11], vcc
	s_cbranch_execz .LBB26_54
; %bb.53:                               ;   in Loop: Header=BB26_52 Depth=2
	ds_read_b64 v[12:13], v3
	v_sub_f32_e32 v11, 0, v6
	s_waitcnt lgkmcnt(0)
	v_mul_f32_e32 v16, v7, v13
	v_mul_f32_e32 v15, v7, v12
	v_fmac_f32_e32 v16, v11, v12
	v_fma_f32 v17, -v6, v13, -v15
	ds_write_b64 v8, v[16:17]
.LBB26_54:                              ;   in Loop: Header=BB26_52 Depth=2
	s_or_b64 exec, exec, s[10:11]
	v_cmp_lt_i32_e32 vcc, s16, v2
	s_and_saveexec_b64 s[10:11], vcc
	s_cbranch_execz .LBB26_51
; %bb.55:                               ;   in Loop: Header=BB26_52 Depth=2
	ds_read_b64 v[12:13], v9
	ds_read_b64 v[16:17], v10
	s_waitcnt lgkmcnt(0)
	v_mul_f32_e32 v11, v17, v13
	v_mul_f32_e32 v13, v16, v13
	v_fma_f32 v11, v16, v12, -v11
	v_fmac_f32_e32 v13, v17, v12
	v_add_f32_e32 v6, v6, v11
	v_add_f32_e32 v7, v7, v13
	s_branch .LBB26_51
.LBB26_56:
	s_or_b64 exec, exec, s[6:7]
	s_and_b32 s6, s28, 0xffff
	v_cvt_f32_u32_e32 v1, s6
	v_cvt_f32_ubyte0_e32 v3, v0
	s_cmpk_lg_i32 s8, 0x7a
	s_cselect_b64 s[8:9], -1, 0
	v_rcp_iflag_f32_e32 v4, v1
	s_mul_i32 s6, s28, s28
	v_cmp_gt_u32_e64 s[6:7], s6, v0
	s_waitcnt lgkmcnt(0)
	v_mul_f32_e32 v4, v3, v4
	v_trunc_f32_e32 v4, v4
	v_cvt_u32_f32_e32 v5, v4
	v_mad_f32 v3, -v4, v1, v3
	v_cmp_ge_f32_e64 vcc, |v3|, v1
	s_barrier
	v_addc_co_u32_e32 v1, vcc, 0, v5, vcc
	v_and_b32_e32 v15, 0xffff, v1
	v_mul_lo_u16_e32 v1, s28, v1
	v_sub_u16_e32 v3, v0, v1
	s_and_b64 vcc, exec, s[8:9]
	s_cbranch_vccz .LBB26_68
; %bb.57:
	s_mov_b64 s[10:11], 0
	s_mov_b64 s[16:17], 0
                                        ; implicit-def: $vgpr1
                                        ; implicit-def: $vgpr4
	s_and_saveexec_b64 s[14:15], s[6:7]
	s_cbranch_execz .LBB26_67
; %bb.58:
	s_mov_b32 s16, 0
	s_mov_b32 s17, s16
	v_add_u32_e32 v6, 1, v15
	v_cmp_lt_u16_e32 vcc, 6, v15
	v_pk_mov_b32 v[0:1], s[16:17], s[16:17] op_sel:[0,1]
	v_mov_b32_e32 v4, 0
	v_lshlrev_b32_e32 v5, 7, v15
	s_and_saveexec_b64 s[18:19], vcc
	s_cbranch_execz .LBB26_62
; %bb.59:
	v_mov_b32_e32 v0, 0
	v_and_b32_e32 v4, 0x7f8, v6
	v_lshlrev_b32_e32 v7, 3, v3
	v_sub_u32_e32 v8, 0x1fc0, v5
	s_mov_b64 s[22:23], 0
	v_mov_b32_e32 v1, v0
.LBB26_60:                              ; =>This Inner Loop Header: Depth=1
	ds_read2_b64 v[10:13], v7 offset1:16
	ds_read_b128 v[16:19], v8
	ds_read_b128 v[20:23], v8 offset:16
	ds_read_b128 v[24:27], v8 offset:32
	;; [unrolled: 1-line block ×3, first 2 shown]
	ds_read2_b64 v[32:35], v7 offset0:32 offset1:48
	ds_read2_b64 v[36:39], v7 offset0:64 offset1:80
	;; [unrolled: 1-line block ×3, first 2 shown]
	s_add_i32 s16, s16, 8
	s_waitcnt lgkmcnt(3)
	v_pk_mul_f32 v[44:45], v[30:31], v[10:11] op_sel:[0,1]
	v_pk_mul_f32 v[46:47], v[28:29], v[12:13] op_sel:[0,1]
	v_pk_fma_f32 v[60:61], v[30:31], v[10:11], v[44:45] op_sel:[0,0,1] op_sel_hi:[1,1,0] neg_lo:[0,0,1] neg_hi:[0,0,1]
	v_pk_fma_f32 v[10:11], v[30:31], v[10:11], v[44:45] op_sel:[0,0,1] op_sel_hi:[1,0,0]
	s_waitcnt lgkmcnt(2)
	v_pk_mul_f32 v[48:49], v[26:27], v[32:33] op_sel:[0,1]
	v_pk_fma_f32 v[30:31], v[28:29], v[12:13], v[46:47] op_sel:[0,0,1] op_sel_hi:[1,1,0] neg_lo:[0,0,1] neg_hi:[0,0,1]
	v_pk_fma_f32 v[12:13], v[28:29], v[12:13], v[46:47] op_sel:[0,0,1] op_sel_hi:[1,0,0]
	v_mov_b32_e32 v61, v11
	v_pk_mul_f32 v[50:51], v[24:25], v[34:35] op_sel:[0,1]
	v_pk_fma_f32 v[28:29], v[26:27], v[32:33], v[48:49] op_sel:[0,0,1] op_sel_hi:[1,1,0] neg_lo:[0,0,1] neg_hi:[0,0,1]
	v_pk_fma_f32 v[26:27], v[26:27], v[32:33], v[48:49] op_sel:[0,0,1] op_sel_hi:[1,0,0]
	v_mov_b32_e32 v31, v13
	v_pk_add_f32 v[0:1], v[0:1], v[60:61]
	s_waitcnt lgkmcnt(1)
	v_pk_mul_f32 v[52:53], v[22:23], v[36:37] op_sel:[0,1]
	v_pk_fma_f32 v[32:33], v[24:25], v[34:35], v[50:51] op_sel:[0,0,1] op_sel_hi:[1,1,0] neg_lo:[0,0,1] neg_hi:[0,0,1]
	v_pk_fma_f32 v[24:25], v[24:25], v[34:35], v[50:51] op_sel:[0,0,1] op_sel_hi:[1,0,0]
	v_mov_b32_e32 v29, v27
	v_pk_add_f32 v[0:1], v[0:1], v[30:31]
	v_pk_mul_f32 v[54:55], v[20:21], v[38:39] op_sel:[0,1]
	v_pk_fma_f32 v[34:35], v[22:23], v[36:37], v[52:53] op_sel:[0,0,1] op_sel_hi:[1,1,0] neg_lo:[0,0,1] neg_hi:[0,0,1]
	v_pk_fma_f32 v[22:23], v[22:23], v[36:37], v[52:53] op_sel:[0,0,1] op_sel_hi:[1,0,0]
	v_mov_b32_e32 v33, v25
	v_pk_add_f32 v[0:1], v[0:1], v[28:29]
	s_waitcnt lgkmcnt(0)
	v_pk_mul_f32 v[56:57], v[18:19], v[40:41] op_sel:[0,1]
	v_pk_fma_f32 v[36:37], v[20:21], v[38:39], v[54:55] op_sel:[0,0,1] op_sel_hi:[1,1,0] neg_lo:[0,0,1] neg_hi:[0,0,1]
	v_pk_fma_f32 v[20:21], v[20:21], v[38:39], v[54:55] op_sel:[0,0,1] op_sel_hi:[1,0,0]
	v_mov_b32_e32 v35, v23
	v_pk_add_f32 v[0:1], v[0:1], v[32:33]
	v_pk_mul_f32 v[58:59], v[16:17], v[42:43] op_sel:[0,1]
	v_pk_fma_f32 v[38:39], v[18:19], v[40:41], v[56:57] op_sel:[0,0,1] op_sel_hi:[1,1,0] neg_lo:[0,0,1] neg_hi:[0,0,1]
	v_pk_fma_f32 v[18:19], v[18:19], v[40:41], v[56:57] op_sel:[0,0,1] op_sel_hi:[1,0,0]
	v_mov_b32_e32 v37, v21
	v_pk_add_f32 v[0:1], v[0:1], v[34:35]
	v_pk_fma_f32 v[40:41], v[16:17], v[42:43], v[58:59] op_sel:[0,0,1] op_sel_hi:[1,1,0] neg_lo:[0,0,1] neg_hi:[0,0,1]
	v_pk_fma_f32 v[16:17], v[16:17], v[42:43], v[58:59] op_sel:[0,0,1] op_sel_hi:[1,0,0]
	v_mov_b32_e32 v39, v19
	v_pk_add_f32 v[0:1], v[0:1], v[36:37]
	v_cmp_eq_u32_e32 vcc, s16, v4
	v_mov_b32_e32 v41, v17
	v_pk_add_f32 v[0:1], v[0:1], v[38:39]
	v_add_u32_e32 v7, 0x400, v7
	v_subrev_u32_e32 v8, 64, v8
	s_or_b64 s[22:23], vcc, s[22:23]
	v_pk_add_f32 v[0:1], v[0:1], v[40:41]
	s_andn2_b64 exec, exec, s[22:23]
	s_cbranch_execnz .LBB26_60
; %bb.61:
	s_or_b64 exec, exec, s[22:23]
.LBB26_62:
	s_or_b64 exec, exec, s[18:19]
	v_and_b32_e32 v6, 7, v6
	v_cmp_ne_u32_e32 vcc, 0, v6
	s_and_saveexec_b64 s[16:17], vcc
	s_cbranch_execz .LBB26_66
; %bb.63:
	v_lshl_add_u32 v5, v4, 3, v5
	v_lshlrev_b32_e32 v7, 3, v3
	v_sub_u32_e32 v5, 0x1ff8, v5
	v_lshl_add_u32 v4, v4, 7, v7
	s_mov_b64 s[18:19], 0
.LBB26_64:                              ; =>This Inner Loop Header: Depth=1
	ds_read_b64 v[8:9], v4
	ds_read_b64 v[10:11], v5
	v_add_u32_e32 v6, -1, v6
	v_cmp_eq_u32_e32 vcc, 0, v6
	v_add_u32_e32 v5, -8, v5
	v_add_u32_e32 v4, 0x80, v4
	s_waitcnt lgkmcnt(0)
	v_pk_mul_f32 v[12:13], v[10:11], v[8:9] op_sel:[0,1]
	v_pk_fma_f32 v[16:17], v[10:11], v[8:9], v[12:13] op_sel:[0,0,1] op_sel_hi:[1,1,0] neg_lo:[0,0,1] neg_hi:[0,0,1]
	v_pk_fma_f32 v[8:9], v[10:11], v[8:9], v[12:13] op_sel:[0,0,1] op_sel_hi:[1,0,0]
	v_mov_b32_e32 v17, v9
	s_or_b64 s[18:19], vcc, s[18:19]
	v_pk_add_f32 v[0:1], v[0:1], v[16:17]
	s_andn2_b64 exec, exec, s[18:19]
	s_cbranch_execnz .LBB26_64
; %bb.65:
	s_or_b64 exec, exec, s[18:19]
.LBB26_66:
	s_or_b64 exec, exec, s[16:17]
	s_mov_b64 s[16:17], exec
	v_lshlrev_b32_e32 v4, 4, v15
.LBB26_67:
	s_or_b64 exec, exec, s[14:15]
	s_and_b64 vcc, exec, s[10:11]
	s_cbranch_vccnz .LBB26_69
	s_branch .LBB26_76
.LBB26_68:
	s_mov_b64 s[16:17], 0
                                        ; implicit-def: $vgpr1
                                        ; implicit-def: $vgpr4
	s_cbranch_execz .LBB26_76
.LBB26_69:
                                        ; implicit-def: $vgpr1
                                        ; implicit-def: $vgpr4
	s_and_saveexec_b64 s[10:11], s[6:7]
	s_cbranch_execz .LBB26_75
; %bb.70:
	v_mov_b32_e32 v1, 0
	v_cmp_gt_u16_e32 vcc, 16, v15
	v_mov_b32_e32 v0, v1
	s_and_saveexec_b64 s[14:15], vcc
	s_cbranch_execz .LBB26_74
; %bb.71:
	v_lshlrev_b32_e32 v0, 3, v3
	v_lshl_add_u32 v4, v15, 7, v0
	s_movk_i32 s18, 0x88
	v_mov_b32_e32 v0, 0x1000
	v_mad_u32_u24 v6, v15, s18, v0
	v_mov_b32_e32 v0, 0
	v_add_u32_e32 v5, -1, v15
	s_mov_b64 s[18:19], 0
	v_mov_b32_e32 v1, v0
.LBB26_72:                              ; =>This Inner Loop Header: Depth=1
	ds_read_b64 v[8:9], v4
	ds_read_b64 v[10:11], v6
	v_add_u32_e32 v5, 1, v5
	v_cmp_lt_u32_e32 vcc, 14, v5
	v_add_u32_e32 v4, 0x80, v4
	v_add_u32_e32 v6, 8, v6
	s_waitcnt lgkmcnt(0)
	v_pk_mul_f32 v[12:13], v[10:11], v[8:9] op_sel:[0,1]
	v_pk_fma_f32 v[16:17], v[10:11], v[8:9], v[12:13] op_sel:[0,0,1] op_sel_hi:[1,1,0] neg_lo:[0,0,1] neg_hi:[0,0,1]
	v_pk_fma_f32 v[8:9], v[10:11], v[8:9], v[12:13] op_sel:[0,0,1] op_sel_hi:[1,0,0]
	v_mov_b32_e32 v17, v9
	s_or_b64 s[18:19], vcc, s[18:19]
	v_pk_add_f32 v[0:1], v[0:1], v[16:17]
	s_andn2_b64 exec, exec, s[18:19]
	s_cbranch_execnz .LBB26_72
; %bb.73:
	s_or_b64 exec, exec, s[18:19]
.LBB26_74:
	s_or_b64 exec, exec, s[14:15]
	v_lshlrev_b32_e32 v4, 4, v15
	s_or_b64 s[16:17], s[16:17], exec
.LBB26_75:
	s_or_b64 exec, exec, s[10:11]
.LBB26_76:
	s_and_saveexec_b64 s[10:11], s[16:17]
	s_cbranch_execz .LBB26_78
; %bb.77:
	v_add_lshl_u32 v4, v4, v3, 3
	ds_write_b64 v4, v[0:1] offset:2048
.LBB26_78:
	s_or_b64 exec, exec, s[10:11]
	s_load_dword s10, s[4:5], 0x48
	s_load_dwordx2 s[16:17], s[4:5], 0x58
	s_lshl_b64 s[4:5], s[20:21], 3
	s_waitcnt lgkmcnt(0)
	s_barrier
	s_ashr_i32 s11, s10, 31
	s_add_u32 s18, s12, s4
	s_addc_u32 s19, s13, s5
	s_lshl_b64 s[14:15], s[10:11], 5
	s_add_u32 s14, s14, 32
	s_addc_u32 s15, s15, 0
	s_mul_hi_u32 s20, s14, s31
	s_mul_i32 s15, s15, s31
	s_add_i32 s15, s20, s15
	s_mul_i32 s14, s14, s31
	s_lshl_b64 s[14:15], s[14:15], 3
	s_add_u32 s18, s18, s14
	s_mul_i32 s17, s30, s17
	s_mul_hi_u32 s20, s30, s16
	s_addc_u32 s19, s19, s15
	s_add_i32 s17, s20, s17
	s_mul_i32 s16, s30, s16
	s_lshl_b64 s[16:17], s[16:17], 3
	s_add_u32 s26, s18, s16
	s_addc_u32 s27, s19, s17
	s_and_b64 vcc, exec, s[8:9]
	s_cbranch_vccz .LBB26_84
; %bb.79:
	s_mov_b64 s[20:21], 0
	s_mov_b64 s[18:19], 0
                                        ; implicit-def: $vgpr0
                                        ; implicit-def: $vgpr4_vgpr5
	s_and_saveexec_b64 s[22:23], s[6:7]
	s_cbranch_execz .LBB26_83
; %bb.80:
	v_mad_u32_u24 v0, s28, v15, v3
	v_mov_b32_e32 v1, 0x800
	v_lshl_add_u32 v6, v0, 3, v1
	v_sub_u32_e32 v0, s28, v3
	v_mul_i32_i24_e32 v0, s28, v0
	v_lshlrev_b32_e32 v0, 3, v0
	v_lshlrev_b32_e32 v4, 3, v3
	v_sub_u32_e32 v0, v0, v4
	v_add_u32_e32 v7, 0xff8, v0
	s_lshl_b32 s18, s28, 3
	v_mov_b32_e32 v0, 0
	v_add_u32_e32 v5, -1, v3
	s_sub_i32 s24, 0, s18
	s_mov_b64 s[18:19], 0
	v_mov_b32_e32 v1, v0
.LBB26_81:                              ; =>This Inner Loop Header: Depth=1
	ds_read_b64 v[8:9], v7
	ds_read_b64 v[10:11], v6
	v_add_u32_e32 v5, 1, v5
	v_cmp_lt_u32_e32 vcc, 14, v5
	v_add_u32_e32 v6, 8, v6
	v_add_u32_e32 v7, s24, v7
	s_waitcnt lgkmcnt(0)
	v_pk_mul_f32 v[12:13], v[8:9], v[10:11] op_sel_hi:[0,1]
	v_pk_fma_f32 v[8:9], v[10:11], v[8:9], v[12:13] op_sel:[0,1,1] op_sel_hi:[1,1,0] neg_lo:[0,1,1] neg_hi:[0,0,1]
	s_or_b64 s[18:19], vcc, s[18:19]
	v_pk_add_f32 v[0:1], v[0:1], v[8:9]
	s_andn2_b64 exec, exec, s[18:19]
	s_cbranch_execnz .LBB26_81
; %bb.82:
	s_or_b64 exec, exec, s[18:19]
	s_mul_hi_i32 s25, s28, s10
	s_mul_i32 s24, s28, s10
	s_lshl_b64 s[24:25], s[24:25], 3
	s_add_u32 s24, s26, s24
	s_addc_u32 s25, s27, s25
	v_mad_i64_i32 v[6:7], s[30:31], v15, s10, 0
	v_mov_b32_e32 v5, s25
	v_add_co_u32_e32 v8, vcc, s24, v4
	v_addc_co_u32_e32 v9, vcc, 0, v5, vcc
	v_lshlrev_b64 v[4:5], 3, v[6:7]
	v_add_co_u32_e32 v4, vcc, v8, v4
	s_mov_b64 s[18:19], exec
	v_addc_co_u32_e32 v5, vcc, v9, v5, vcc
	global_store_dword v[4:5], v1, off
.LBB26_83:
	s_or_b64 exec, exec, s[22:23]
	s_and_b64 vcc, exec, s[20:21]
	s_cbranch_vccnz .LBB26_85
	s_branch .LBB26_96
.LBB26_84:
	s_mov_b64 s[18:19], 0
                                        ; implicit-def: $vgpr0
                                        ; implicit-def: $vgpr4_vgpr5
	s_cbranch_execz .LBB26_96
.LBB26_85:
                                        ; implicit-def: $vgpr0
                                        ; implicit-def: $vgpr4_vgpr5
	s_and_saveexec_b64 s[20:21], s[6:7]
	s_cbranch_execz .LBB26_95
; %bb.86:
	s_mov_b32 s6, 0
	s_mov_b32 s7, s6
	v_mul_u32_u24_e32 v5, s28, v15
	v_add_u32_e32 v17, 1, v3
	v_cmp_lt_u16_e32 vcc, 6, v3
	v_pk_mov_b32 v[0:1], s[6:7], s[6:7] op_sel:[0,1]
	v_mov_b32_e32 v16, 0
	s_and_saveexec_b64 s[22:23], vcc
	s_cbranch_execz .LBB26_90
; %bb.87:
	v_mov_b32_e32 v0, 0x800
	v_lshl_add_u32 v18, v5, 3, v0
	v_mov_b32_e32 v0, 0x1800
	v_lshl_add_u32 v4, v3, 3, v0
	v_mad_u64_u32 v[6:7], s[24:25], s28, 24, v[4:5]
	v_mad_u64_u32 v[8:9], s[24:25], s28, 40, v[4:5]
	;; [unrolled: 1-line block ×4, first 2 shown]
	v_mov_b32_e32 v0, 0
	v_and_b32_e32 v16, 56, v17
	v_lshl_add_u32 v19, s28, 3, v4
	s_lshl_b32 s7, s28, 6
	v_lshl_add_u32 v20, s28, 4, v4
	v_lshl_add_u32 v7, s28, 5, v4
	s_mov_b64 s[24:25], 0
	v_mov_b32_e32 v1, v0
.LBB26_88:                              ; =>This Inner Loop Header: Depth=1
	ds_read_b64 v[38:39], v4
	ds_read2_b64 v[22:25], v18 offset1:1
	ds_read2_b64 v[26:29], v18 offset0:2 offset1:3
	ds_read_b64 v[40:41], v19
	ds_read_b64 v[42:43], v20
	ds_read_b64 v[44:45], v7
	ds_read2_b64 v[30:33], v18 offset0:4 offset1:5
	ds_read2_b64 v[34:37], v18 offset0:6 offset1:7
	ds_read_b64 v[46:47], v6
	ds_read_b64 v[48:49], v8
	;; [unrolled: 1-line block ×4, first 2 shown]
	s_waitcnt lgkmcnt(10)
	v_pk_mul_f32 v[54:55], v[38:39], v[22:23] op_sel_hi:[0,1]
	s_waitcnt lgkmcnt(8)
	v_pk_mul_f32 v[56:57], v[40:41], v[24:25] op_sel_hi:[0,1]
	v_pk_fma_f32 v[22:23], v[22:23], v[38:39], v[54:55] op_sel:[0,1,1] op_sel_hi:[1,1,0] neg_lo:[0,1,1] neg_hi:[0,0,1]
	s_waitcnt lgkmcnt(7)
	v_pk_mul_f32 v[58:59], v[42:43], v[26:27] op_sel_hi:[0,1]
	v_pk_fma_f32 v[24:25], v[24:25], v[40:41], v[56:57] op_sel:[0,1,1] op_sel_hi:[1,1,0] neg_lo:[0,1,1] neg_hi:[0,0,1]
	v_pk_add_f32 v[0:1], v[0:1], v[22:23]
	s_waitcnt lgkmcnt(3)
	v_pk_mul_f32 v[60:61], v[46:47], v[28:29] op_sel_hi:[0,1]
	v_pk_fma_f32 v[26:27], v[26:27], v[42:43], v[58:59] op_sel:[0,1,1] op_sel_hi:[1,1,0] neg_lo:[0,1,1] neg_hi:[0,0,1]
	v_pk_add_f32 v[0:1], v[0:1], v[24:25]
	v_pk_mul_f32 v[62:63], v[44:45], v[30:31] op_sel_hi:[0,1]
	v_pk_fma_f32 v[28:29], v[28:29], v[46:47], v[60:61] op_sel:[0,1,1] op_sel_hi:[1,1,0] neg_lo:[0,1,1] neg_hi:[0,0,1]
	v_pk_add_f32 v[0:1], v[0:1], v[26:27]
	s_waitcnt lgkmcnt(2)
	v_pk_mul_f32 v[38:39], v[48:49], v[32:33] op_sel_hi:[0,1]
	v_pk_fma_f32 v[30:31], v[30:31], v[44:45], v[62:63] op_sel:[0,1,1] op_sel_hi:[1,1,0] neg_lo:[0,1,1] neg_hi:[0,0,1]
	v_pk_add_f32 v[0:1], v[0:1], v[28:29]
	s_waitcnt lgkmcnt(1)
	v_pk_mul_f32 v[40:41], v[50:51], v[34:35] op_sel_hi:[0,1]
	v_pk_fma_f32 v[32:33], v[32:33], v[48:49], v[38:39] op_sel:[0,1,1] op_sel_hi:[1,1,0] neg_lo:[0,1,1] neg_hi:[0,0,1]
	v_pk_add_f32 v[0:1], v[0:1], v[30:31]
	s_add_i32 s6, s6, 8
	s_waitcnt lgkmcnt(0)
	v_pk_mul_f32 v[54:55], v[52:53], v[36:37] op_sel_hi:[0,1]
	v_pk_fma_f32 v[34:35], v[34:35], v[50:51], v[40:41] op_sel:[0,1,1] op_sel_hi:[1,1,0] neg_lo:[0,1,1] neg_hi:[0,0,1]
	v_pk_add_f32 v[0:1], v[0:1], v[32:33]
	v_cmp_eq_u32_e32 vcc, s6, v16
	v_pk_fma_f32 v[36:37], v[36:37], v[52:53], v[54:55] op_sel:[0,1,1] op_sel_hi:[1,1,0] neg_lo:[0,1,1] neg_hi:[0,0,1]
	v_pk_add_f32 v[0:1], v[0:1], v[34:35]
	v_add_u32_e32 v18, 64, v18
	v_add_u32_e32 v19, s7, v19
	;; [unrolled: 1-line block ×9, first 2 shown]
	s_or_b64 s[24:25], vcc, s[24:25]
	v_pk_add_f32 v[0:1], v[0:1], v[36:37]
	s_andn2_b64 exec, exec, s[24:25]
	s_cbranch_execnz .LBB26_88
; %bb.89:
	s_or_b64 exec, exec, s[24:25]
.LBB26_90:
	s_or_b64 exec, exec, s[22:23]
	v_and_b32_e32 v4, 7, v17
	v_cmp_ne_u32_e32 vcc, 0, v4
	s_and_saveexec_b64 s[6:7], vcc
	s_cbranch_execz .LBB26_94
; %bb.91:
	v_add_u32_e32 v5, v5, v16
	v_mov_b32_e32 v6, 0x800
	v_lshl_add_u32 v5, v5, 3, v6
	v_mad_u32_u24 v6, v16, s28, v3
	v_mov_b32_e32 v7, 0x1800
	v_lshl_add_u32 v6, v6, 3, v7
	s_lshl_b32 s24, s28, 3
	s_mov_b64 s[22:23], 0
.LBB26_92:                              ; =>This Inner Loop Header: Depth=1
	ds_read_b64 v[8:9], v6
	ds_read_b64 v[10:11], v5
	v_add_u32_e32 v4, -1, v4
	v_cmp_eq_u32_e32 vcc, 0, v4
	v_add_u32_e32 v5, 8, v5
	v_add_u32_e32 v6, s24, v6
	s_waitcnt lgkmcnt(0)
	v_pk_mul_f32 v[12:13], v[8:9], v[10:11] op_sel_hi:[0,1]
	v_pk_fma_f32 v[8:9], v[10:11], v[8:9], v[12:13] op_sel:[0,1,1] op_sel_hi:[1,1,0] neg_lo:[0,1,1] neg_hi:[0,0,1]
	s_or_b64 s[22:23], vcc, s[22:23]
	v_pk_add_f32 v[0:1], v[0:1], v[8:9]
	s_andn2_b64 exec, exec, s[22:23]
	s_cbranch_execnz .LBB26_92
; %bb.93:
	s_or_b64 exec, exec, s[22:23]
.LBB26_94:
	s_or_b64 exec, exec, s[6:7]
	v_mad_i64_i32 v[4:5], s[6:7], v15, s10, 0
	v_lshlrev_b64 v[4:5], 3, v[4:5]
	v_mov_b32_e32 v6, s27
	v_add_co_u32_e32 v4, vcc, s26, v4
	v_addc_co_u32_e32 v5, vcc, v6, v5, vcc
	v_add_lshl_u32 v3, s28, v3, 3
	v_add_co_u32_e32 v4, vcc, v4, v3
	v_addc_co_u32_e32 v5, vcc, 0, v5, vcc
	s_or_b64 s[18:19], s[18:19], exec
	global_store_dword v[4:5], v1, off
.LBB26_95:
	s_or_b64 exec, exec, s[20:21]
.LBB26_96:
	s_and_saveexec_b64 s[6:7], s[18:19]
	s_cbranch_execnz .LBB26_98
; %bb.97:
	s_or_b64 exec, exec, s[6:7]
	s_and_saveexec_b64 s[6:7], s[2:3]
	s_cbranch_execnz .LBB26_99
	s_branch .LBB26_110
.LBB26_98:
	global_store_dword v[4:5], v0, off offset:4
	s_or_b64 exec, exec, s[6:7]
	s_and_saveexec_b64 s[6:7], s[2:3]
	s_cbranch_execz .LBB26_110
.LBB26_99:
	v_pk_mov_b32 v[0:1], 0, 0
	s_and_saveexec_b64 s[2:3], s[0:1]
	s_cbranch_execnz .LBB26_102
; %bb.100:
	s_or_b64 exec, exec, s[2:3]
	s_mov_b64 s[0:1], -1
	s_and_b64 vcc, exec, s[8:9]
	s_cbranch_vccnz .LBB26_103
.LBB26_101:
	s_andn2_b64 vcc, exec, s[0:1]
	s_cbranch_vccz .LBB26_107
	s_branch .LBB26_110
.LBB26_102:
	s_add_u32 s0, s10, 1
	s_addc_u32 s1, s11, 0
	s_mul_i32 s1, s1, s28
	s_mul_hi_u32 s6, s0, s28
	s_add_i32 s1, s6, s1
	s_mul_i32 s0, s0, s28
	v_pk_mov_b32 v[0:1], s[0:1], s[0:1] op_sel:[0,1]
	s_or_b64 exec, exec, s[2:3]
	s_mov_b64 s[0:1], -1
	s_and_b64 vcc, exec, s[8:9]
	s_cbranch_vccz .LBB26_101
.LBB26_103:
	v_cmp_gt_i32_e32 vcc, s28, v2
	s_and_saveexec_b64 s[0:1], vcc
	s_cbranch_execz .LBB26_106
; %bb.104:
	s_cmp_lt_u32 s29, 16
	s_cselect_b32 s3, s29, 16
	s_cselect_b32 s2, 0, 0
	s_add_u32 s6, s3, -1
	s_addc_u32 s2, s2, -1
	s_mul_i32 s3, s6, s11
	s_mul_hi_u32 s7, s6, s10
	s_add_i32 s3, s7, s3
	s_mul_i32 s2, s2, s10
	s_add_i32 s3, s3, s2
	s_mul_i32 s2, s6, s10
	s_lshl_b64 s[2:3], s[2:3], 3
	s_add_u32 s2, s2, s16
	s_addc_u32 s3, s3, s17
	s_add_u32 s2, s2, s14
	s_addc_u32 s3, s3, s15
	s_add_u32 s2, s4, s2
	v_xad_u32 v3, v2, -1, s28
	v_lshlrev_b64 v[4:5], 3, v[0:1]
	s_addc_u32 s3, s5, s3
	v_lshl_add_u32 v6, v3, 3, v14
	v_ashrrev_i32_e32 v3, 31, v2
	v_mov_b32_e32 v7, s3
	v_add_co_u32_e32 v8, vcc, s2, v4
	v_addc_co_u32_e32 v7, vcc, v7, v5, vcc
	v_lshlrev_b64 v[4:5], 3, v[2:3]
	v_add_co_u32_e32 v3, vcc, v8, v4
	s_lshl_b64 s[4:5], s[10:11], 3
	v_addc_co_u32_e32 v5, vcc, v7, v5, vcc
	s_sub_u32 s4, 0, s4
	v_mov_b32_e32 v7, s13
	v_add_co_u32_e32 v4, vcc, s12, v3
	s_subb_u32 s6, 0, s5
	v_addc_co_u32_e32 v5, vcc, v7, v5, vcc
	s_mov_b64 s[2:3], 0
	s_lshl_b32 s5, s28, 3
	v_mov_b32_e32 v3, s6
	s_mov_b32 s6, s28
.LBB26_105:                             ; =>This Inner Loop Header: Depth=1
	ds_read_b64 v[8:9], v6
	s_add_i32 s6, s6, -1
	v_cmp_le_i32_e32 vcc, s6, v2
	s_or_b64 s[2:3], vcc, s[2:3]
	v_add_u32_e32 v6, s5, v6
	s_waitcnt lgkmcnt(0)
	global_store_dwordx2 v[4:5], v[8:9], off
	v_add_co_u32_e32 v4, vcc, s4, v4
	v_addc_co_u32_e32 v5, vcc, v5, v3, vcc
	s_andn2_b64 exec, exec, s[2:3]
	s_cbranch_execnz .LBB26_105
.LBB26_106:
	s_or_b64 exec, exec, s[0:1]
	s_cbranch_execnz .LBB26_110
.LBB26_107:
	v_cmp_lt_i32_e32 vcc, -1, v2
	s_and_b64 exec, exec, vcc
	s_cbranch_execz .LBB26_110
; %bb.108:
	v_lshlrev_b64 v[0:1], 3, v[0:1]
	v_mov_b32_e32 v3, 0
	v_mov_b32_e32 v5, s27
	v_add_co_u32_e32 v6, vcc, s26, v0
	v_addc_co_u32_e32 v5, vcc, v5, v1, vcc
	v_lshlrev_b64 v[0:1], 3, v[2:3]
	v_add_co_u32_e32 v0, vcc, v6, v0
	s_lshl_b64 s[0:1], s[10:11], 3
	v_lshl_add_u32 v4, v2, 3, v14
	v_addc_co_u32_e32 v1, vcc, v5, v1, vcc
	v_add_u32_e32 v2, 1, v2
	s_lshl_b32 s4, s28, 3
	s_mov_b64 s[2:3], 0
	v_mov_b32_e32 v3, s1
.LBB26_109:                             ; =>This Inner Loop Header: Depth=1
	ds_read_b64 v[6:7], v4
	v_add_u32_e32 v2, -1, v2
	v_cmp_eq_u32_e32 vcc, 0, v2
	s_or_b64 s[2:3], vcc, s[2:3]
	v_add_u32_e32 v4, s4, v4
	s_waitcnt lgkmcnt(0)
	global_store_dwordx2 v[0:1], v[6:7], off
	v_add_co_u32_e32 v0, vcc, s0, v0
	v_addc_co_u32_e32 v1, vcc, v1, v3, vcc
	s_andn2_b64 exec, exec, s[2:3]
	s_cbranch_execnz .LBB26_109
.LBB26_110:
	s_endpgm
	.section	.rodata,"a",@progbits
	.p2align	6, 0x0
	.amdhsa_kernel _ZL29rocblas_trtri_diagonal_kernelILi16E19rocblas_complex_numIfEPKPKS1_PKPS1_Ev13rocblas_fill_17rocblas_diagonal_iT1_lillT2_lilli
		.amdhsa_group_segment_fixed_size 8192
		.amdhsa_private_segment_fixed_size 0
		.amdhsa_kernarg_size 100
		.amdhsa_user_sgpr_count 6
		.amdhsa_user_sgpr_private_segment_buffer 1
		.amdhsa_user_sgpr_dispatch_ptr 0
		.amdhsa_user_sgpr_queue_ptr 0
		.amdhsa_user_sgpr_kernarg_segment_ptr 1
		.amdhsa_user_sgpr_dispatch_id 0
		.amdhsa_user_sgpr_flat_scratch_init 0
		.amdhsa_user_sgpr_kernarg_preload_length 0
		.amdhsa_user_sgpr_kernarg_preload_offset 0
		.amdhsa_user_sgpr_private_segment_size 0
		.amdhsa_uses_dynamic_stack 0
		.amdhsa_system_sgpr_private_segment_wavefront_offset 0
		.amdhsa_system_sgpr_workgroup_id_x 1
		.amdhsa_system_sgpr_workgroup_id_y 0
		.amdhsa_system_sgpr_workgroup_id_z 1
		.amdhsa_system_sgpr_workgroup_info 0
		.amdhsa_system_vgpr_workitem_id 0
		.amdhsa_next_free_vgpr 64
		.amdhsa_next_free_sgpr 40
		.amdhsa_accum_offset 64
		.amdhsa_reserve_vcc 1
		.amdhsa_reserve_flat_scratch 0
		.amdhsa_float_round_mode_32 0
		.amdhsa_float_round_mode_16_64 0
		.amdhsa_float_denorm_mode_32 3
		.amdhsa_float_denorm_mode_16_64 3
		.amdhsa_dx10_clamp 1
		.amdhsa_ieee_mode 1
		.amdhsa_fp16_overflow 0
		.amdhsa_tg_split 0
		.amdhsa_exception_fp_ieee_invalid_op 0
		.amdhsa_exception_fp_denorm_src 0
		.amdhsa_exception_fp_ieee_div_zero 0
		.amdhsa_exception_fp_ieee_overflow 0
		.amdhsa_exception_fp_ieee_underflow 0
		.amdhsa_exception_fp_ieee_inexact 0
		.amdhsa_exception_int_div_zero 0
	.end_amdhsa_kernel
	.section	.text._ZL29rocblas_trtri_diagonal_kernelILi16E19rocblas_complex_numIfEPKPKS1_PKPS1_Ev13rocblas_fill_17rocblas_diagonal_iT1_lillT2_lilli,"axG",@progbits,_ZL29rocblas_trtri_diagonal_kernelILi16E19rocblas_complex_numIfEPKPKS1_PKPS1_Ev13rocblas_fill_17rocblas_diagonal_iT1_lillT2_lilli,comdat
.Lfunc_end26:
	.size	_ZL29rocblas_trtri_diagonal_kernelILi16E19rocblas_complex_numIfEPKPKS1_PKPS1_Ev13rocblas_fill_17rocblas_diagonal_iT1_lillT2_lilli, .Lfunc_end26-_ZL29rocblas_trtri_diagonal_kernelILi16E19rocblas_complex_numIfEPKPKS1_PKPS1_Ev13rocblas_fill_17rocblas_diagonal_iT1_lillT2_lilli
                                        ; -- End function
	.section	.AMDGPU.csdata,"",@progbits
; Kernel info:
; codeLenInByte = 4752
; NumSgprs: 44
; NumVgprs: 64
; NumAgprs: 0
; TotalNumVgprs: 64
; ScratchSize: 0
; MemoryBound: 0
; FloatMode: 240
; IeeeMode: 1
; LDSByteSize: 8192 bytes/workgroup (compile time only)
; SGPRBlocks: 5
; VGPRBlocks: 7
; NumSGPRsForWavesPerEU: 44
; NumVGPRsForWavesPerEU: 64
; AccumOffset: 64
; Occupancy: 8
; WaveLimiterHint : 1
; COMPUTE_PGM_RSRC2:SCRATCH_EN: 0
; COMPUTE_PGM_RSRC2:USER_SGPR: 6
; COMPUTE_PGM_RSRC2:TRAP_HANDLER: 0
; COMPUTE_PGM_RSRC2:TGID_X_EN: 1
; COMPUTE_PGM_RSRC2:TGID_Y_EN: 0
; COMPUTE_PGM_RSRC2:TGID_Z_EN: 1
; COMPUTE_PGM_RSRC2:TIDIG_COMP_CNT: 0
; COMPUTE_PGM_RSRC3_GFX90A:ACCUM_OFFSET: 15
; COMPUTE_PGM_RSRC3_GFX90A:TG_SPLIT: 0
	.section	.text._ZL30rocblas_trtri_remainder_kernelILi16E19rocblas_complex_numIfEPKPKS1_PKPS1_Ev13rocblas_fill_17rocblas_diagonal_iT1_lillT2_lilli,"axG",@progbits,_ZL30rocblas_trtri_remainder_kernelILi16E19rocblas_complex_numIfEPKPKS1_PKPS1_Ev13rocblas_fill_17rocblas_diagonal_iT1_lillT2_lilli,comdat
	.globl	_ZL30rocblas_trtri_remainder_kernelILi16E19rocblas_complex_numIfEPKPKS1_PKPS1_Ev13rocblas_fill_17rocblas_diagonal_iT1_lillT2_lilli ; -- Begin function _ZL30rocblas_trtri_remainder_kernelILi16E19rocblas_complex_numIfEPKPKS1_PKPS1_Ev13rocblas_fill_17rocblas_diagonal_iT1_lillT2_lilli
	.p2align	8
	.type	_ZL30rocblas_trtri_remainder_kernelILi16E19rocblas_complex_numIfEPKPKS1_PKPS1_Ev13rocblas_fill_17rocblas_diagonal_iT1_lillT2_lilli,@function
_ZL30rocblas_trtri_remainder_kernelILi16E19rocblas_complex_numIfEPKPKS1_PKPS1_Ev13rocblas_fill_17rocblas_diagonal_iT1_lillT2_lilli: ; @_ZL30rocblas_trtri_remainder_kernelILi16E19rocblas_complex_numIfEPKPKS1_PKPS1_Ev13rocblas_fill_17rocblas_diagonal_iT1_lillT2_lilli
; %bb.0:
	s_load_dwordx4 s[8:11], s[4:5], 0x0
	s_waitcnt lgkmcnt(0)
	s_cmp_lt_i32 s10, 1
	s_cbranch_scc1 .LBB27_53
; %bb.1:
	s_load_dwordx4 s[16:19], s[4:5], 0x30
	s_load_dwordx2 s[20:21], s[4:5], 0x40
	s_mov_b32 s0, s7
	s_mov_b32 s1, 0
	s_lshl_b64 s[26:27], s[0:1], 3
	s_waitcnt lgkmcnt(0)
	s_add_u32 s0, s18, s26
	s_addc_u32 s1, s19, s27
	s_load_dwordx2 s[18:19], s[0:1], 0x0
	v_cmp_le_u32_e64 s[2:3], s10, v0
	v_cmp_gt_u32_e64 s[0:1], s10, v0
	s_and_saveexec_b64 s[22:23], s[0:1]
	s_cbranch_execz .LBB27_14
; %bb.2:
	s_load_dwordx4 s[12:15], s[4:5], 0x10
	s_load_dword s24, s[4:5], 0x20
	s_mul_i32 s7, s6, s17
	s_mul_hi_u32 s11, s6, s16
	s_mul_i32 s16, s6, s16
	s_waitcnt lgkmcnt(0)
	s_add_u32 s12, s12, s26
	s_addc_u32 s13, s13, s27
	s_load_dwordx2 s[12:13], s[12:13], 0x0
	s_add_i32 s17, s11, s7
	s_cmpk_lg_i32 s8, 0x7a
	s_mov_b64 s[26:27], -1
	s_cbranch_scc0 .LBB27_6
; %bb.3:
	s_ashr_i32 s25, s24, 31
	s_lshl_b32 s7, s10, 3
	s_ashr_i32 s11, s10, 31
	s_add_u32 s26, s10, -1
	s_addc_u32 s11, s11, -1
	s_mul_i32 s27, s26, s25
	s_mul_hi_u32 s28, s26, s24
	s_add_i32 s27, s28, s27
	s_mul_i32 s11, s11, s24
	s_add_i32 s27, s27, s11
	s_mul_i32 s26, s26, s24
	s_lshl_b64 s[26:27], s[26:27], 3
	s_lshl_b64 s[28:29], s[16:17], 3
	s_add_u32 s11, s26, s28
	s_addc_u32 s28, s27, s29
	s_lshl_b64 s[26:27], s[14:15], 3
	s_add_u32 s11, s11, s26
	s_addc_u32 s26, s28, s27
	s_waitcnt lgkmcnt(0)
	s_add_u32 s11, s12, s11
	v_lshlrev_b32_e32 v2, 3, v0
	s_addc_u32 s26, s13, s26
	s_lshl_b64 s[28:29], s[24:25], 3
	v_sub_u32_e32 v1, s7, v2
	v_add_co_u32_e32 v2, vcc, s11, v2
	s_sub_u32 s11, 0, s28
	v_mov_b32_e32 v3, s26
	s_subb_u32 s25, 0, s29
	v_add_u32_e32 v1, -8, v1
	v_addc_co_u32_e32 v3, vcc, 0, v3, vcc
	s_mov_b64 s[26:27], 0
	v_mov_b32_e32 v4, s25
	s_mov_b32 s25, s10
.LBB27_4:                               ; =>This Inner Loop Header: Depth=1
	global_load_dwordx2 v[6:7], v[2:3], off
	v_add_co_u32_e32 v2, vcc, s11, v2
	s_add_i32 s25, s25, -1
	v_addc_co_u32_e32 v3, vcc, v3, v4, vcc
	v_cmp_le_i32_e32 vcc, s25, v0
	s_or_b64 s[26:27], vcc, s[26:27]
	s_waitcnt vmcnt(0)
	ds_write_b64 v1, v[6:7]
	v_add_u32_e32 v1, s7, v1
	s_andn2_b64 exec, exec, s[26:27]
	s_cbranch_execnz .LBB27_4
; %bb.5:
	s_or_b64 exec, exec, s[26:27]
	s_mov_b64 s[26:27], 0
.LBB27_6:
	s_and_b64 vcc, exec, s[26:27]
	s_cbranch_vccz .LBB27_14
; %bb.7:
	v_mov_b32_e32 v1, 0
	s_ashr_i32 s25, s24, 31
	v_add_u32_e32 v4, 1, v0
	v_cmp_lt_u32_e32 vcc, 2, v0
	s_and_saveexec_b64 s[26:27], vcc
	s_cbranch_execz .LBB27_11
; %bb.8:
	s_lshl_b64 s[28:29], s[14:15], 3
	s_waitcnt lgkmcnt(0)
	s_add_u32 s7, s12, s28
	s_addc_u32 s11, s13, s29
	s_lshl_b64 s[28:29], s[16:17], 3
	s_add_u32 s7, s7, s28
	s_addc_u32 s11, s11, s29
	v_lshlrev_b32_e32 v5, 3, v0
	v_mov_b32_e32 v1, s11
	v_add_co_u32_e32 v2, vcc, s7, v5
	s_mul_hi_i32 s41, s24, 24
	s_lshl_b64 s[28:29], s[24:25], 5
	s_lshl_b64 s[30:31], s[24:25], 4
	;; [unrolled: 1-line block ×3, first 2 shown]
	v_addc_co_u32_e32 v3, vcc, 0, v1, vcc
	v_and_b32_e32 v1, 0x7fc, v4
	s_mul_i32 s7, s24, 24
	s_lshl_b32 s11, s10, 3
	s_lshl_b32 s33, s10, 5
	;; [unrolled: 1-line block ×3, first 2 shown]
	s_mul_i32 s39, s10, 24
	s_mov_b32 s40, 0
	s_mov_b64 s[36:37], 0
	v_mov_b32_e32 v6, s35
	v_mov_b32_e32 v7, s31
	;; [unrolled: 1-line block ×4, first 2 shown]
.LBB27_9:                               ; =>This Inner Loop Header: Depth=1
	v_add_co_u32_e32 v12, vcc, s34, v2
	v_addc_co_u32_e32 v13, vcc, v3, v6, vcc
	v_add_co_u32_e32 v14, vcc, s30, v2
	v_addc_co_u32_e32 v15, vcc, v3, v7, vcc
	global_load_dwordx2 v[10:11], v[2:3], off
	v_add_co_u32_e32 v16, vcc, s7, v2
	v_addc_co_u32_e32 v17, vcc, v3, v8, vcc
	global_load_dwordx2 v[18:19], v[12:13], off
	global_load_dwordx2 v[20:21], v[14:15], off
	;; [unrolled: 1-line block ×3, first 2 shown]
	v_add_co_u32_e32 v2, vcc, s28, v2
	s_add_i32 s40, s40, 4
	v_addc_co_u32_e32 v3, vcc, v3, v9, vcc
	v_cmp_eq_u32_e32 vcc, s40, v1
	v_add_u32_e32 v12, s11, v5
	v_add_u32_e32 v13, s38, v5
	;; [unrolled: 1-line block ×3, first 2 shown]
	s_or_b64 s[36:37], vcc, s[36:37]
	s_waitcnt vmcnt(3)
	ds_write_b64 v5, v[10:11]
	v_add_u32_e32 v5, s33, v5
	s_waitcnt vmcnt(2)
	ds_write_b64 v12, v[18:19]
	s_waitcnt vmcnt(1)
	ds_write_b64 v13, v[20:21]
	;; [unrolled: 2-line block ×3, first 2 shown]
	s_andn2_b64 exec, exec, s[36:37]
	s_cbranch_execnz .LBB27_9
; %bb.10:
	s_or_b64 exec, exec, s[36:37]
.LBB27_11:
	s_or_b64 exec, exec, s[26:27]
	v_and_b32_e32 v4, 3, v4
	v_cmp_ne_u32_e32 vcc, 0, v4
	s_and_b64 exec, exec, vcc
	s_cbranch_execz .LBB27_14
; %bb.12:
	v_mul_lo_u32 v2, v1, s10
	s_lshl_b32 s7, s10, 3
	s_lshl_b64 s[16:17], s[16:17], 3
	s_lshl_b64 s[14:15], s[14:15], 3
	v_add_lshl_u32 v5, v0, v2, 3
	v_mad_i64_i32 v[2:3], s[26:27], s24, v1, 0
	s_add_u32 s11, s14, s16
	v_lshlrev_b64 v[2:3], 3, v[2:3]
	s_addc_u32 s14, s15, s17
	v_mov_b32_e32 v1, s14
	v_add_co_u32_e32 v2, vcc, s11, v2
	v_addc_co_u32_e32 v1, vcc, v1, v3, vcc
	v_lshlrev_b32_e32 v3, 3, v0
	v_add_co_u32_e32 v2, vcc, v2, v3
	v_addc_co_u32_e32 v1, vcc, 0, v1, vcc
	s_waitcnt lgkmcnt(0)
	v_mov_b32_e32 v3, s13
	v_add_co_u32_e32 v2, vcc, s12, v2
	s_lshl_b64 s[12:13], s[24:25], 3
	v_addc_co_u32_e32 v3, vcc, v3, v1, vcc
	s_mov_b64 s[14:15], 0
	v_mov_b32_e32 v1, s13
.LBB27_13:                              ; =>This Inner Loop Header: Depth=1
	global_load_dwordx2 v[6:7], v[2:3], off
	v_add_co_u32_e32 v2, vcc, s12, v2
	v_addc_co_u32_e32 v3, vcc, v3, v1, vcc
	v_add_u32_e32 v4, -1, v4
	v_cmp_eq_u32_e32 vcc, 0, v4
	s_or_b64 s[14:15], vcc, s[14:15]
	s_waitcnt vmcnt(0)
	ds_write_b64 v5, v[6:7]
	v_add_u32_e32 v5, s7, v5
	s_andn2_b64 exec, exec, s[14:15]
	s_cbranch_execnz .LBB27_13
.LBB27_14:
	s_or_b64 exec, exec, s[22:23]
	s_waitcnt lgkmcnt(0)
	s_barrier
	s_waitcnt lgkmcnt(0)
                                        ; implicit-def: $vgpr2
	s_and_saveexec_b64 s[12:13], s[2:3]
	s_xor_b64 s[2:3], exec, s[12:13]
; %bb.15:
	v_mad_u64_u32 v[2:3], s[12:13], v0, s10, v[0:1]
; %bb.16:
	s_andn2_saveexec_b64 s[12:13], s[2:3]
	s_cbranch_execz .LBB27_29
; %bb.17:
	v_mad_u64_u32 v[2:3], s[2:3], v0, s10, v[0:1]
	s_cmpk_lg_i32 s9, 0x84
	v_lshlrev_b32_e32 v1, 3, v2
	s_cbranch_scc0 .LBB27_27
; %bb.18:
	ds_read_b64 v[4:5], v1
	s_waitcnt lgkmcnt(0)
	v_cmp_neq_f32_e32 vcc, 0, v4
	v_cmp_neq_f32_e64 s[2:3], 0, v5
	s_or_b64 s[2:3], vcc, s[2:3]
	s_and_saveexec_b64 s[14:15], s[2:3]
	s_xor_b64 s[2:3], exec, s[14:15]
	s_cbranch_execz .LBB27_24
; %bb.19:
	v_cmp_gt_f32_e32 vcc, 0, v5
	v_cndmask_b32_e64 v3, v5, -v5, vcc
	v_cmp_gt_f32_e32 vcc, 0, v4
	v_cndmask_b32_e64 v6, v4, -v4, vcc
	v_cmp_ngt_f32_e32 vcc, v6, v3
                                        ; implicit-def: $vgpr6_vgpr7
	s_and_saveexec_b64 s[14:15], vcc
	s_xor_b64 s[14:15], exec, s[14:15]
	s_cbranch_execz .LBB27_21
; %bb.20:
	v_div_scale_f32 v3, s[16:17], v5, v5, v4
	v_rcp_f32_e32 v6, v3
	v_div_scale_f32 v7, vcc, v4, v5, v4
	v_fma_f32 v8, -v3, v6, 1.0
	v_fmac_f32_e32 v6, v8, v6
	v_mul_f32_e32 v8, v7, v6
	v_fma_f32 v9, -v3, v8, v7
	v_fmac_f32_e32 v8, v9, v6
	v_fma_f32 v3, -v3, v8, v7
	v_div_fmas_f32 v3, v3, v6, v8
	v_div_fixup_f32 v3, v3, v5, v4
	v_fmac_f32_e32 v5, v4, v3
	v_div_scale_f32 v4, s[16:17], v5, v5, 1.0
	v_rcp_f32_e32 v6, v4
	v_fma_f32 v7, -v4, v6, 1.0
	v_fmac_f32_e32 v6, v7, v6
	v_div_scale_f32 v7, vcc, 1.0, v5, 1.0
	v_mul_f32_e32 v8, v7, v6
	v_fma_f32 v9, -v4, v8, v7
	v_fmac_f32_e32 v8, v9, v6
	v_fma_f32 v4, -v4, v8, v7
	v_div_fmas_f32 v4, v4, v6, v8
	v_div_fixup_f32 v4, v4, v5, 1.0
	v_mul_f32_e32 v6, v3, v4
	v_xor_b32_e32 v7, 0x80000000, v4
                                        ; implicit-def: $vgpr4_vgpr5
.LBB27_21:
	s_andn2_saveexec_b64 s[14:15], s[14:15]
	s_cbranch_execz .LBB27_23
; %bb.22:
	v_div_scale_f32 v3, s[16:17], v4, v4, v5
	v_rcp_f32_e32 v6, v3
	v_div_scale_f32 v7, vcc, v5, v4, v5
	v_fma_f32 v8, -v3, v6, 1.0
	v_fmac_f32_e32 v6, v8, v6
	v_mul_f32_e32 v8, v7, v6
	v_fma_f32 v9, -v3, v8, v7
	v_fmac_f32_e32 v8, v9, v6
	v_fma_f32 v3, -v3, v8, v7
	v_div_fmas_f32 v3, v3, v6, v8
	v_div_fixup_f32 v3, v3, v4, v5
	v_fmac_f32_e32 v4, v5, v3
	v_div_scale_f32 v5, s[16:17], v4, v4, 1.0
	v_rcp_f32_e32 v6, v5
	v_fma_f32 v7, -v5, v6, 1.0
	v_fmac_f32_e32 v6, v7, v6
	v_div_scale_f32 v7, vcc, 1.0, v4, 1.0
	v_mul_f32_e32 v8, v7, v6
	v_fma_f32 v9, -v5, v8, v7
	v_fmac_f32_e32 v8, v9, v6
	v_fma_f32 v5, -v5, v8, v7
	v_div_fmas_f32 v5, v5, v6, v8
	v_div_fixup_f32 v6, v5, v4, 1.0
	v_mul_f32_e64 v7, v3, -v6
.LBB27_23:
	s_or_b64 exec, exec, s[14:15]
	ds_write_b64 v1, v[6:7]
.LBB27_24:
	s_andn2_saveexec_b64 s[2:3], s[2:3]
	s_cbranch_execz .LBB27_26
; %bb.25:
	v_mov_b32_e32 v4, 1.0
	v_mov_b32_e32 v5, 0
	ds_write_b64 v1, v[4:5]
.LBB27_26:
	s_or_b64 exec, exec, s[2:3]
	s_cbranch_execz .LBB27_28
	s_branch .LBB27_29
.LBB27_27:
.LBB27_28:
	v_mov_b32_e32 v4, 1.0
	v_mov_b32_e32 v5, 0
	ds_write_b64 v1, v[4:5]
.LBB27_29:
	s_or_b64 exec, exec, s[12:13]
	s_lshl_b32 s11, s10, 3
	v_lshlrev_b32_e32 v1, 3, v2
	s_mov_b32 s7, 8
	s_add_i32 s9, s11, 8
	v_add_lshl_u32 v2, v0, s10, 3
	s_mov_b32 s12, 0
	s_waitcnt lgkmcnt(0)
	s_barrier
	s_branch .LBB27_31
.LBB27_30:                              ;   in Loop: Header=BB27_31 Depth=1
	s_add_i32 s7, s7, s9
	s_cmp_eq_u32 s12, s10
	v_add_u32_e32 v2, s11, v2
	s_barrier
	s_cbranch_scc1 .LBB27_40
.LBB27_31:                              ; =>This Loop Header: Depth=1
                                        ;     Child Loop BB27_36 Depth 2
	s_mul_i32 s13, s12, s10
	v_cmp_lt_u32_e32 vcc, s12, v0
	v_mov_b32_e32 v4, 0
	v_add_lshl_u32 v3, s13, v0, 3
	v_mov_b32_e32 v5, 0
	s_and_saveexec_b64 s[2:3], vcc
	s_cbranch_execz .LBB27_33
; %bb.32:                               ;   in Loop: Header=BB27_31 Depth=1
	s_add_i32 s13, s13, s12
	s_lshl_b32 s13, s13, 3
	v_mov_b32_e32 v6, s13
	ds_read_b64 v[4:5], v3
	ds_read_b64 v[6:7], v6
	s_waitcnt lgkmcnt(0)
	v_mul_f32_e32 v8, v7, v5
	v_mul_f32_e32 v5, v6, v5
	v_fma_f32 v6, v6, v4, -v8
	v_fmac_f32_e32 v5, v7, v4
	v_add_f32_e32 v4, 0, v6
	v_add_f32_e32 v5, 0, v5
.LBB27_33:                              ;   in Loop: Header=BB27_31 Depth=1
	s_or_b64 exec, exec, s[2:3]
	s_add_i32 s12, s12, 1
	s_cmp_ge_i32 s12, s10
	s_barrier
	s_cbranch_scc1 .LBB27_30
; %bb.34:                               ;   in Loop: Header=BB27_31 Depth=1
	v_mov_b32_e32 v6, v2
	s_mov_b32 s13, s7
	s_mov_b32 s14, s12
	s_branch .LBB27_36
.LBB27_35:                              ;   in Loop: Header=BB27_36 Depth=2
	s_or_b64 exec, exec, s[2:3]
	s_add_i32 s14, s14, 1
	s_add_i32 s13, s13, 8
	s_cmp_ge_i32 s14, s10
	v_add_u32_e32 v6, s11, v6
	s_barrier
	s_cbranch_scc1 .LBB27_30
.LBB27_36:                              ;   Parent Loop BB27_31 Depth=1
                                        ; =>  This Inner Loop Header: Depth=2
	v_cmp_eq_u32_e32 vcc, s14, v0
	s_and_saveexec_b64 s[2:3], vcc
	s_cbranch_execz .LBB27_38
; %bb.37:                               ;   in Loop: Header=BB27_36 Depth=2
	ds_read_b64 v[8:9], v1
	v_sub_f32_e32 v7, 0, v4
	s_waitcnt lgkmcnt(0)
	v_mul_f32_e32 v10, v5, v9
	v_mul_f32_e32 v11, v5, v8
	v_fmac_f32_e32 v10, v7, v8
	v_fma_f32 v11, -v4, v9, -v11
	ds_write_b64 v3, v[10:11]
.LBB27_38:                              ;   in Loop: Header=BB27_36 Depth=2
	s_or_b64 exec, exec, s[2:3]
	v_cmp_lt_u32_e32 vcc, s14, v0
	s_waitcnt lgkmcnt(0)
	s_barrier
	s_and_saveexec_b64 s[2:3], vcc
	s_cbranch_execz .LBB27_35
; %bb.39:                               ;   in Loop: Header=BB27_36 Depth=2
	v_mov_b32_e32 v7, s13
	ds_read_b64 v[8:9], v6
	ds_read_b64 v[10:11], v7
	s_waitcnt lgkmcnt(0)
	v_mul_f32_e32 v7, v11, v9
	v_mul_f32_e32 v9, v10, v9
	v_fma_f32 v7, v10, v8, -v7
	v_fmac_f32_e32 v9, v11, v8
	v_add_f32_e32 v4, v4, v7
	v_add_f32_e32 v5, v5, v9
	s_branch .LBB27_35
.LBB27_40:
	s_and_saveexec_b64 s[2:3], s[0:1]
	s_cbranch_execz .LBB27_53
; %bb.41:
	s_load_dwordx2 s[2:3], s[4:5], 0x58
	s_load_dword s0, s[4:5], 0x48
	s_mov_b64 s[4:5], -1
	v_lshlrev_b32_e32 v1, 3, v0
	s_waitcnt lgkmcnt(0)
	s_mul_i32 s1, s6, s3
	s_mul_hi_u32 s3, s6, s2
	s_add_i32 s3, s3, s1
	s_mul_i32 s2, s6, s2
	s_cmpk_lg_i32 s8, 0x7a
	s_cbranch_scc0 .LBB27_45
; %bb.42:
	s_add_i32 s6, s10, -1
	s_ashr_i32 s1, s0, 31
	s_mul_i32 s7, s1, s6
	s_mul_hi_u32 s8, s0, s6
	s_add_i32 s7, s8, s7
	s_mul_i32 s6, s0, s6
	s_lshl_b64 s[4:5], s[2:3], 3
	s_lshl_b64 s[6:7], s[6:7], 3
	s_add_u32 s6, s4, s6
	s_addc_u32 s7, s5, s7
	s_lshl_b64 s[4:5], s[20:21], 3
	s_add_u32 s4, s6, s4
	s_addc_u32 s5, s7, s5
	s_add_u32 s4, s18, s4
	s_addc_u32 s5, s19, s5
	s_lshl_b64 s[6:7], s[0:1], 3
	v_lshlrev_b32_e32 v4, 3, v0
	s_sub_u32 s1, 0, s6
	v_mov_b32_e32 v3, s5
	v_add_co_u32_e32 v2, vcc, s4, v4
	s_subb_u32 s6, 0, s7
	v_sub_u32_e32 v4, s11, v4
	v_addc_co_u32_e32 v3, vcc, 0, v3, vcc
	s_mov_b64 s[4:5], 0
	v_add_u32_e32 v4, -8, v4
	v_mov_b32_e32 v5, s6
	s_mov_b32 s6, s10
.LBB27_43:                              ; =>This Inner Loop Header: Depth=1
	ds_read_b64 v[6:7], v4
	s_add_i32 s6, s6, -1
	v_cmp_le_i32_e32 vcc, s6, v0
	s_or_b64 s[4:5], vcc, s[4:5]
	v_add_u32_e32 v4, s11, v4
	s_waitcnt lgkmcnt(0)
	global_store_dwordx2 v[2:3], v[6:7], off
	v_add_co_u32_e32 v2, vcc, s1, v2
	v_addc_co_u32_e32 v3, vcc, v3, v5, vcc
	s_andn2_b64 exec, exec, s[4:5]
	s_cbranch_execnz .LBB27_43
; %bb.44:
	s_or_b64 exec, exec, s[4:5]
	s_mov_b64 s[4:5], 0
.LBB27_45:
	s_and_b64 vcc, exec, s[4:5]
	s_cbranch_vccz .LBB27_53
; %bb.46:
	v_mov_b32_e32 v4, 0
	s_ashr_i32 s1, s0, 31
	v_add_u32_e32 v5, 1, v0
	v_cmp_lt_u32_e32 vcc, 2, v0
	s_and_saveexec_b64 s[4:5], vcc
	s_cbranch_execz .LBB27_50
; %bb.47:
	s_lshl_b64 s[6:7], s[20:21], 3
	s_add_u32 s8, s18, s6
	s_addc_u32 s9, s19, s7
	s_lshl_b64 s[6:7], s[2:3], 3
	s_add_u32 s6, s8, s6
	s_addc_u32 s7, s9, s7
	v_mov_b32_e32 v3, s7
	v_add_co_u32_e32 v2, vcc, s6, v1
	s_mul_hi_i32 s25, s0, 24
	s_lshl_b64 s[6:7], s[0:1], 5
	s_lshl_b64 s[8:9], s[0:1], 4
	s_lshl_b64 s[12:13], s[0:1], 3
	v_addc_co_u32_e32 v3, vcc, 0, v3, vcc
	v_and_b32_e32 v4, 0x7fc, v5
	s_mul_i32 s16, s0, 24
	s_lshl_b32 s17, s10, 5
	s_lshl_b32 s22, s10, 4
	s_mul_i32 s23, s10, 24
	s_mov_b32 s24, 0
	s_mov_b64 s[14:15], 0
	v_mov_b32_e32 v6, s13
	v_mov_b32_e32 v7, s9
	;; [unrolled: 1-line block ×5, first 2 shown]
.LBB27_48:                              ; =>This Inner Loop Header: Depth=1
	v_add_co_u32_e32 v14, vcc, s12, v2
	v_addc_co_u32_e32 v15, vcc, v3, v6, vcc
	ds_read_b64 v[12:13], v10
	v_add_co_u32_e32 v16, vcc, s8, v2
	v_add_u32_e32 v11, s11, v10
	v_add_u32_e32 v22, s22, v10
	v_addc_co_u32_e32 v17, vcc, v3, v7, vcc
	v_add_u32_e32 v24, s23, v10
	v_add_co_u32_e32 v18, vcc, s16, v2
	ds_read_b64 v[20:21], v11
	ds_read_b64 v[22:23], v22
	;; [unrolled: 1-line block ×3, first 2 shown]
	v_addc_co_u32_e32 v19, vcc, v3, v8, vcc
	s_add_i32 s24, s24, 4
	v_cmp_eq_u32_e32 vcc, s24, v4
	s_or_b64 s[14:15], vcc, s[14:15]
	s_waitcnt lgkmcnt(3)
	global_store_dwordx2 v[2:3], v[12:13], off
	v_add_co_u32_e32 v2, vcc, s6, v2
	v_add_u32_e32 v10, s17, v10
	v_addc_co_u32_e32 v3, vcc, v3, v9, vcc
	s_waitcnt lgkmcnt(2)
	global_store_dwordx2 v[14:15], v[20:21], off
	s_waitcnt lgkmcnt(1)
	global_store_dwordx2 v[16:17], v[22:23], off
	;; [unrolled: 2-line block ×3, first 2 shown]
	s_andn2_b64 exec, exec, s[14:15]
	s_cbranch_execnz .LBB27_48
; %bb.49:
	s_or_b64 exec, exec, s[14:15]
.LBB27_50:
	s_or_b64 exec, exec, s[4:5]
	v_and_b32_e32 v5, 3, v5
	v_cmp_ne_u32_e32 vcc, 0, v5
	s_and_b64 exec, exec, vcc
	s_cbranch_execz .LBB27_53
; %bb.51:
	v_mad_i64_i32 v[2:3], s[4:5], s0, v4, 0
	s_lshl_b64 s[2:3], s[2:3], 3
	s_lshl_b64 s[4:5], s[20:21], 3
	s_add_u32 s2, s4, s2
	v_lshlrev_b64 v[2:3], 3, v[2:3]
	s_addc_u32 s3, s5, s3
	v_mov_b32_e32 v6, s3
	v_add_co_u32_e32 v2, vcc, s2, v2
	v_addc_co_u32_e32 v3, vcc, v6, v3, vcc
	v_add_co_u32_e32 v1, vcc, v2, v1
	v_addc_co_u32_e32 v3, vcc, 0, v3, vcc
	v_mov_b32_e32 v6, s19
	v_add_co_u32_e32 v2, vcc, s18, v1
	s_lshl_b64 s[0:1], s[0:1], 3
	v_mul_lo_u32 v1, v4, s10
	v_addc_co_u32_e32 v3, vcc, v6, v3, vcc
	v_add_lshl_u32 v0, v0, v1, 3
	s_mov_b64 s[2:3], 0
	v_mov_b32_e32 v1, s1
.LBB27_52:                              ; =>This Inner Loop Header: Depth=1
	ds_read_b64 v[6:7], v0
	v_add_u32_e32 v5, -1, v5
	v_cmp_eq_u32_e32 vcc, 0, v5
	s_or_b64 s[2:3], vcc, s[2:3]
	v_add_u32_e32 v0, s11, v0
	s_waitcnt lgkmcnt(0)
	global_store_dwordx2 v[2:3], v[6:7], off
	v_add_co_u32_e32 v2, vcc, s0, v2
	v_addc_co_u32_e32 v3, vcc, v3, v1, vcc
	s_andn2_b64 exec, exec, s[2:3]
	s_cbranch_execnz .LBB27_52
.LBB27_53:
	s_endpgm
	.section	.rodata,"a",@progbits
	.p2align	6, 0x0
	.amdhsa_kernel _ZL30rocblas_trtri_remainder_kernelILi16E19rocblas_complex_numIfEPKPKS1_PKPS1_Ev13rocblas_fill_17rocblas_diagonal_iT1_lillT2_lilli
		.amdhsa_group_segment_fixed_size 8192
		.amdhsa_private_segment_fixed_size 0
		.amdhsa_kernarg_size 100
		.amdhsa_user_sgpr_count 6
		.amdhsa_user_sgpr_private_segment_buffer 1
		.amdhsa_user_sgpr_dispatch_ptr 0
		.amdhsa_user_sgpr_queue_ptr 0
		.amdhsa_user_sgpr_kernarg_segment_ptr 1
		.amdhsa_user_sgpr_dispatch_id 0
		.amdhsa_user_sgpr_flat_scratch_init 0
		.amdhsa_user_sgpr_kernarg_preload_length 0
		.amdhsa_user_sgpr_kernarg_preload_offset 0
		.amdhsa_user_sgpr_private_segment_size 0
		.amdhsa_uses_dynamic_stack 0
		.amdhsa_system_sgpr_private_segment_wavefront_offset 0
		.amdhsa_system_sgpr_workgroup_id_x 1
		.amdhsa_system_sgpr_workgroup_id_y 0
		.amdhsa_system_sgpr_workgroup_id_z 1
		.amdhsa_system_sgpr_workgroup_info 0
		.amdhsa_system_vgpr_workitem_id 0
		.amdhsa_next_free_vgpr 26
		.amdhsa_next_free_sgpr 42
		.amdhsa_accum_offset 28
		.amdhsa_reserve_vcc 1
		.amdhsa_reserve_flat_scratch 0
		.amdhsa_float_round_mode_32 0
		.amdhsa_float_round_mode_16_64 0
		.amdhsa_float_denorm_mode_32 3
		.amdhsa_float_denorm_mode_16_64 3
		.amdhsa_dx10_clamp 1
		.amdhsa_ieee_mode 1
		.amdhsa_fp16_overflow 0
		.amdhsa_tg_split 0
		.amdhsa_exception_fp_ieee_invalid_op 0
		.amdhsa_exception_fp_denorm_src 0
		.amdhsa_exception_fp_ieee_div_zero 0
		.amdhsa_exception_fp_ieee_overflow 0
		.amdhsa_exception_fp_ieee_underflow 0
		.amdhsa_exception_fp_ieee_inexact 0
		.amdhsa_exception_int_div_zero 0
	.end_amdhsa_kernel
	.section	.text._ZL30rocblas_trtri_remainder_kernelILi16E19rocblas_complex_numIfEPKPKS1_PKPS1_Ev13rocblas_fill_17rocblas_diagonal_iT1_lillT2_lilli,"axG",@progbits,_ZL30rocblas_trtri_remainder_kernelILi16E19rocblas_complex_numIfEPKPKS1_PKPS1_Ev13rocblas_fill_17rocblas_diagonal_iT1_lillT2_lilli,comdat
.Lfunc_end27:
	.size	_ZL30rocblas_trtri_remainder_kernelILi16E19rocblas_complex_numIfEPKPKS1_PKPS1_Ev13rocblas_fill_17rocblas_diagonal_iT1_lillT2_lilli, .Lfunc_end27-_ZL30rocblas_trtri_remainder_kernelILi16E19rocblas_complex_numIfEPKPKS1_PKPS1_Ev13rocblas_fill_17rocblas_diagonal_iT1_lillT2_lilli
                                        ; -- End function
	.section	.AMDGPU.csdata,"",@progbits
; Kernel info:
; codeLenInByte = 2388
; NumSgprs: 46
; NumVgprs: 26
; NumAgprs: 0
; TotalNumVgprs: 26
; ScratchSize: 0
; MemoryBound: 0
; FloatMode: 240
; IeeeMode: 1
; LDSByteSize: 8192 bytes/workgroup (compile time only)
; SGPRBlocks: 5
; VGPRBlocks: 3
; NumSGPRsForWavesPerEU: 46
; NumVGPRsForWavesPerEU: 26
; AccumOffset: 28
; Occupancy: 8
; WaveLimiterHint : 0
; COMPUTE_PGM_RSRC2:SCRATCH_EN: 0
; COMPUTE_PGM_RSRC2:USER_SGPR: 6
; COMPUTE_PGM_RSRC2:TRAP_HANDLER: 0
; COMPUTE_PGM_RSRC2:TGID_X_EN: 1
; COMPUTE_PGM_RSRC2:TGID_Y_EN: 0
; COMPUTE_PGM_RSRC2:TGID_Z_EN: 1
; COMPUTE_PGM_RSRC2:TIDIG_COMP_CNT: 0
; COMPUTE_PGM_RSRC3_GFX90A:ACCUM_OFFSET: 6
; COMPUTE_PGM_RSRC3_GFX90A:TG_SPLIT: 0
	.section	.text._ZL18rocblas_trtri_fillILi128E19rocblas_complex_numIdEPKPS1_EvP15_rocblas_handle13rocblas_fill_ililT1_llii,"axG",@progbits,_ZL18rocblas_trtri_fillILi128E19rocblas_complex_numIdEPKPS1_EvP15_rocblas_handle13rocblas_fill_ililT1_llii,comdat
	.globl	_ZL18rocblas_trtri_fillILi128E19rocblas_complex_numIdEPKPS1_EvP15_rocblas_handle13rocblas_fill_ililT1_llii ; -- Begin function _ZL18rocblas_trtri_fillILi128E19rocblas_complex_numIdEPKPS1_EvP15_rocblas_handle13rocblas_fill_ililT1_llii
	.p2align	8
	.type	_ZL18rocblas_trtri_fillILi128E19rocblas_complex_numIdEPKPS1_EvP15_rocblas_handle13rocblas_fill_ililT1_llii,@function
_ZL18rocblas_trtri_fillILi128E19rocblas_complex_numIdEPKPS1_EvP15_rocblas_handle13rocblas_fill_ililT1_llii: ; @_ZL18rocblas_trtri_fillILi128E19rocblas_complex_numIdEPKPS1_EvP15_rocblas_handle13rocblas_fill_ililT1_llii
; %bb.0:
	s_load_dword s1, s[4:5], 0x40
	s_load_dwordx2 s[2:3], s[4:5], 0x10
	s_mov_b32 s0, s7
	s_waitcnt lgkmcnt(0)
	s_ashr_i32 s7, s1, 31
	s_mul_i32 s8, s1, s3
	s_mul_hi_u32 s9, s1, s2
	s_add_i32 s8, s9, s8
	s_mul_i32 s7, s7, s2
	s_add_i32 s13, s8, s7
	s_mov_b32 s7, 0
	s_lshl_b64 s[8:9], s[6:7], 7
	s_mul_i32 s12, s1, s2
	v_or_b32_e32 v4, s8, v0
	v_mov_b32_e32 v5, s9
	v_cmp_gt_u64_e32 vcc, s[12:13], v[4:5]
	s_and_saveexec_b64 s[8:9], vcc
	s_cbranch_execz .LBB28_16
; %bb.1:
	s_load_dword s6, s[4:5], 0x18
	s_load_dwordx4 s[8:11], s[4:5], 0x20
	s_load_dwordx2 s[14:15], s[4:5], 0x30
	s_mov_b32 s1, s7
	s_lshl_b64 s[0:1], s[0:1], 3
	s_waitcnt lgkmcnt(0)
	s_ashr_i32 s7, s6, 31
	s_add_u32 s0, s10, s0
	s_addc_u32 s1, s11, s1
	s_load_dwordx2 s[16:17], s[0:1], 0x0
	s_load_dwordx2 s[10:11], s[4:5], 0x8
	s_lshl_b64 s[0:1], s[14:15], 4
	v_cvt_f32_u32_e32 v0, s2
	v_cvt_f32_u32_e32 v1, s3
	s_waitcnt lgkmcnt(0)
	s_add_u32 s20, s16, s0
	s_addc_u32 s21, s17, s1
	s_add_i32 s0, s11, -2
	v_cvt_f64_i32_e32 v[6:7], s0
	s_add_i32 s0, s11, -1
	s_mul_hi_i32 s1, s0, s11
	s_mul_i32 s0, s0, s11
	s_ashr_i32 s22, s11, 31
	s_lshl_b64 s[14:15], s[0:1], 2
	s_mov_b32 s23, s11
	s_add_u32 s11, s14, -7
	s_load_dword s14, s[4:5], 0x48
	s_load_dword s16, s[4:5], 0x54
	v_madmk_f32 v0, v1, 0x4f800000, v0
	v_rcp_f32_e32 v1, v0
	v_cvt_f32_u32_e32 v3, s2
	s_addc_u32 s24, s15, -1
	s_lshr_b64 s[4:5], s[0:1], 1
	v_mul_f32_e32 v1, 0x5f7ffffc, v1
	v_mul_f32_e32 v2, 0x2f800000, v1
	v_trunc_f32_e32 v2, v2
	v_madmk_f32 v1, v2, 0xcf800000, v1
	v_cvt_u32_f32_e32 v12, v1
	v_rcp_iflag_f32_e32 v1, v3
	v_cvt_u32_f32_e32 v13, v2
	s_waitcnt lgkmcnt(0)
	s_and_b32 s0, s16, 0xffff
	s_mov_b32 s16, 0
	v_mul_f32_e32 v1, 0x4f7ffffe, v1
	v_cvt_u32_f32_e32 v14, v1
	s_mul_hi_u32 s25, s0, s14
	s_mul_i32 s26, s0, s14
	s_mov_b64 s[14:15], 0
	v_mov_b32_e32 v0, 0
	s_brev_b32 s17, 8
	v_mov_b32_e32 v15, 0x260
	s_movk_i32 s27, 0xffe0
	v_mov_b32_e32 v16, 0xffffff80
	s_branch .LBB28_3
.LBB28_2:                               ;   in Loop: Header=BB28_3 Depth=1
	v_mov_b32_e32 v1, s25
	v_add_co_u32_e32 v4, vcc, s26, v4
	v_addc_co_u32_e32 v5, vcc, v5, v1, vcc
	v_cmp_le_u64_e32 vcc, s[12:13], v[4:5]
	s_or_b64 s[14:15], vcc, s[14:15]
	s_andn2_b64 exec, exec, s[14:15]
	s_cbranch_execz .LBB28_16
.LBB28_3:                               ; =>This Inner Loop Header: Depth=1
	v_or_b32_e32 v1, s3, v5
	v_cmp_ne_u64_e32 vcc, 0, v[0:1]
                                        ; implicit-def: $vgpr2_vgpr3
	s_and_saveexec_b64 s[0:1], vcc
	s_xor_b64 s[18:19], exec, s[0:1]
	s_cbranch_execz .LBB28_5
; %bb.4:                                ;   in Loop: Header=BB28_3 Depth=1
	s_sub_u32 s0, 0, s2
	s_subb_u32 s1, 0, s3
	v_mul_hi_u32 v2, s0, v12
	v_mul_lo_u32 v3, s0, v13
	v_mul_lo_u32 v1, s1, v12
	v_add_u32_e32 v2, v2, v3
	v_add_u32_e32 v1, v2, v1
	v_mul_lo_u32 v8, s0, v12
	v_mul_lo_u32 v3, v12, v1
	v_mul_hi_u32 v9, v12, v8
	v_mul_hi_u32 v2, v12, v1
	v_add_co_u32_e32 v3, vcc, v9, v3
	v_addc_co_u32_e32 v2, vcc, 0, v2, vcc
	v_mul_hi_u32 v10, v13, v8
	v_mul_lo_u32 v8, v13, v8
	v_add_co_u32_e32 v3, vcc, v3, v8
	v_mul_hi_u32 v9, v13, v1
	v_addc_co_u32_e32 v2, vcc, v2, v10, vcc
	v_addc_co_u32_e32 v3, vcc, 0, v9, vcc
	v_mul_lo_u32 v1, v13, v1
	v_add_co_u32_e32 v1, vcc, v2, v1
	v_addc_co_u32_e32 v2, vcc, 0, v3, vcc
	v_add_co_u32_e32 v1, vcc, v12, v1
	v_addc_co_u32_e32 v2, vcc, v13, v2, vcc
	v_mul_lo_u32 v3, s0, v2
	v_mul_hi_u32 v8, s0, v1
	v_add_u32_e32 v3, v8, v3
	v_mul_lo_u32 v8, s1, v1
	v_add_u32_e32 v3, v3, v8
	v_mul_lo_u32 v9, s0, v1
	v_mul_hi_u32 v10, v2, v9
	v_mul_lo_u32 v11, v2, v9
	v_mul_lo_u32 v18, v1, v3
	v_mul_hi_u32 v9, v1, v9
	v_mul_hi_u32 v17, v1, v3
	v_add_co_u32_e32 v9, vcc, v9, v18
	v_addc_co_u32_e32 v17, vcc, 0, v17, vcc
	v_add_co_u32_e32 v9, vcc, v9, v11
	v_mul_hi_u32 v8, v2, v3
	v_addc_co_u32_e32 v9, vcc, v17, v10, vcc
	v_addc_co_u32_e32 v8, vcc, 0, v8, vcc
	v_mul_lo_u32 v3, v2, v3
	v_add_co_u32_e32 v3, vcc, v9, v3
	v_addc_co_u32_e32 v8, vcc, 0, v8, vcc
	v_add_co_u32_e32 v1, vcc, v1, v3
	v_addc_co_u32_e32 v8, vcc, v2, v8, vcc
	v_mad_u64_u32 v[2:3], s[0:1], v4, v8, 0
	v_mul_hi_u32 v9, v4, v1
	v_add_co_u32_e32 v10, vcc, v9, v2
	v_addc_co_u32_e32 v11, vcc, 0, v3, vcc
	v_mad_u64_u32 v[2:3], s[0:1], v5, v8, 0
	v_mad_u64_u32 v[8:9], s[0:1], v5, v1, 0
	v_add_co_u32_e32 v1, vcc, v10, v8
	v_addc_co_u32_e32 v1, vcc, v11, v9, vcc
	v_addc_co_u32_e32 v3, vcc, 0, v3, vcc
	v_add_co_u32_e32 v1, vcc, v1, v2
	v_addc_co_u32_e32 v8, vcc, 0, v3, vcc
	v_mul_lo_u32 v9, s3, v1
	v_mul_lo_u32 v10, s2, v8
	v_mad_u64_u32 v[2:3], s[0:1], s2, v1, 0
	v_add3_u32 v3, v3, v10, v9
	v_sub_u32_e32 v9, v5, v3
	v_mov_b32_e32 v10, s3
	v_sub_co_u32_e32 v2, vcc, v4, v2
	v_subb_co_u32_e64 v9, s[0:1], v9, v10, vcc
	v_subrev_co_u32_e64 v10, s[0:1], s2, v2
	v_subbrev_co_u32_e64 v9, s[0:1], 0, v9, s[0:1]
	v_cmp_le_u32_e64 s[0:1], s3, v9
	v_cndmask_b32_e64 v11, 0, -1, s[0:1]
	v_cmp_le_u32_e64 s[0:1], s2, v10
	v_cndmask_b32_e64 v10, 0, -1, s[0:1]
	v_cmp_eq_u32_e64 s[0:1], s3, v9
	v_cndmask_b32_e64 v9, v11, v10, s[0:1]
	v_add_co_u32_e64 v10, s[0:1], 2, v1
	v_addc_co_u32_e64 v11, s[0:1], 0, v8, s[0:1]
	v_add_co_u32_e64 v17, s[0:1], 1, v1
	v_addc_co_u32_e64 v18, s[0:1], 0, v8, s[0:1]
	v_subb_co_u32_e32 v3, vcc, v5, v3, vcc
	v_cmp_ne_u32_e64 s[0:1], 0, v9
	v_cmp_le_u32_e32 vcc, s3, v3
	v_cndmask_b32_e64 v9, v18, v11, s[0:1]
	v_cndmask_b32_e64 v11, 0, -1, vcc
	v_cmp_le_u32_e32 vcc, s2, v2
	v_cndmask_b32_e64 v2, 0, -1, vcc
	v_cmp_eq_u32_e32 vcc, s3, v3
	v_cndmask_b32_e32 v2, v11, v2, vcc
	v_cmp_ne_u32_e32 vcc, 0, v2
	v_cndmask_b32_e64 v2, v17, v10, s[0:1]
	v_cndmask_b32_e32 v3, v8, v9, vcc
	v_cndmask_b32_e32 v2, v1, v2, vcc
.LBB28_5:                               ;   in Loop: Header=BB28_3 Depth=1
	s_andn2_saveexec_b64 s[0:1], s[18:19]
	s_cbranch_execz .LBB28_7
; %bb.6:                                ;   in Loop: Header=BB28_3 Depth=1
	s_sub_i32 s18, 0, s2
	v_mul_lo_u32 v1, s18, v14
	v_mul_hi_u32 v1, v14, v1
	v_add_u32_e32 v1, v14, v1
	v_mul_hi_u32 v1, v4, v1
	v_mul_lo_u32 v2, v1, s2
	v_sub_u32_e32 v2, v4, v2
	v_subrev_u32_e32 v3, s2, v2
	v_cmp_le_u32_e32 vcc, s2, v2
	v_cndmask_b32_e32 v2, v2, v3, vcc
	v_add_u32_e32 v3, 1, v1
	v_cndmask_b32_e32 v1, v1, v3, vcc
	v_add_u32_e32 v3, 1, v1
	v_cmp_le_u32_e32 vcc, s2, v2
	v_cndmask_b32_e32 v2, v1, v3, vcc
	v_mov_b32_e32 v3, v0
.LBB28_7:                               ;   in Loop: Header=BB28_3 Depth=1
	s_or_b64 exec, exec, s[0:1]
	v_mul_lo_u32 v1, v3, s2
	v_mul_lo_u32 v10, v2, s3
	v_mad_u64_u32 v[8:9], s[0:1], v2, s2, 0
	v_add3_u32 v1, v9, v10, v1
	v_sub_co_u32_e32 v8, vcc, v4, v8
	s_cmpk_lt_i32 s10, 0x7a
	v_subb_co_u32_e32 v9, vcc, v5, v1, vcc
	s_cbranch_scc1 .LBB28_10
; %bb.8:                                ;   in Loop: Header=BB28_3 Depth=1
	s_mov_b64 s[0:1], 0
	s_cmpk_eq_i32 s10, 0x7a
	s_mov_b64 s[18:19], 0
                                        ; implicit-def: $vgpr10_vgpr11
	s_cbranch_scc0 .LBB28_11
; %bb.9:                                ;   in Loop: Header=BB28_3 Depth=1
	v_lshlrev_b64 v[10:11], 3, v[8:9]
	v_mov_b32_e32 v1, s24
	v_sub_co_u32_e32 v17, vcc, s11, v10
	v_subb_co_u32_e32 v1, vcc, v1, v11, vcc
	v_cvt_f64_u32_e32 v[10:11], v1
	v_ldexp_f64 v[10:11], v[10:11], 32
	v_cvt_f64_u32_e32 v[18:19], v17
	v_add_f64 v[10:11], v[10:11], v[18:19]
	v_cmp_gt_f64_e32 vcc, s[16:17], v[10:11]
	v_cndmask_b32_e64 v1, 0, 1, vcc
	v_lshlrev_b32_e32 v1, 8, v1
	v_ldexp_f64 v[10:11], v[10:11], v1
	v_rsq_f64_e32 v[18:19], v[10:11]
	v_cndmask_b32_e32 v1, 0, v16, vcc
	v_cmp_class_f64_e32 vcc, v[10:11], v15
	v_mul_f64 v[20:21], v[10:11], v[18:19]
	v_mul_f64 v[18:19], v[18:19], 0.5
	v_fma_f64 v[22:23], -v[18:19], v[20:21], 0.5
	v_fmac_f64_e32 v[20:21], v[20:21], v[22:23]
	v_fma_f64 v[24:25], -v[20:21], v[20:21], v[10:11]
	v_fmac_f64_e32 v[18:19], v[18:19], v[22:23]
	v_fmac_f64_e32 v[20:21], v[24:25], v[18:19]
	v_fma_f64 v[22:23], -v[20:21], v[20:21], v[10:11]
	v_fmac_f64_e32 v[20:21], v[22:23], v[18:19]
	v_ldexp_f64 v[18:19], v[20:21], v1
	v_cndmask_b32_e32 v11, v19, v11, vcc
	v_cndmask_b32_e32 v10, v18, v10, vcc
	v_fma_f64 v[10:11], v[10:11], 0.5, -0.5
	v_floor_f64_e32 v[10:11], v[10:11]
	v_add_f64 v[10:11], v[6:7], -v[10:11]
	v_trunc_f64_e32 v[10:11], v[10:11]
	v_ldexp_f64 v[18:19], v[10:11], s27
	v_floor_f64_e32 v[18:19], v[18:19]
	v_fmac_f64_e32 v[10:11], 0xc1f00000, v[18:19]
	v_cvt_u32_f64_e32 v10, v[10:11]
	v_cvt_u32_f64_e32 v11, v[18:19]
	v_mov_b32_e32 v1, s5
	v_subrev_co_u32_e32 v18, vcc, s4, v8
	v_subb_co_u32_e32 v19, vcc, v9, v1, vcc
	v_mov_b32_e32 v1, s22
	v_sub_co_u32_e32 v17, vcc, s23, v10
	v_subb_co_u32_e32 v1, vcc, v1, v11, vcc
	v_add_co_u32_e32 v20, vcc, -1, v17
	v_addc_co_u32_e32 v21, vcc, -1, v1, vcc
	v_mul_lo_u32 v22, v21, v17
	v_mul_lo_u32 v1, v20, v1
	v_mad_u64_u32 v[20:21], s[18:19], v20, v17, 0
	v_add3_u32 v21, v21, v1, v22
	v_mul_lo_u32 v1, v3, s8
	v_mul_lo_u32 v17, v2, s9
	v_mad_u64_u32 v[22:23], s[18:19], v2, s8, 0
	v_add3_u32 v23, v23, v17, v1
	v_mul_lo_u32 v1, v10, s7
	v_mad_u64_u32 v[24:25], s[18:19], v10, s6, 0
	v_mul_lo_u32 v17, v11, s6
	v_lshlrev_b64 v[22:23], 4, v[22:23]
	v_add3_u32 v25, v25, v1, v17
	v_mov_b32_e32 v1, s21
	v_add_co_u32_e32 v17, vcc, s20, v22
	v_addc_co_u32_e32 v1, vcc, v1, v23, vcc
	v_lshlrev_b64 v[22:23], 4, v[24:25]
	v_add_co_u32_e32 v17, vcc, v17, v22
	v_addc_co_u32_e32 v1, vcc, v1, v23, vcc
	v_lshlrev_b64 v[18:19], 4, v[18:19]
	;; [unrolled: 3-line block ×4, first 2 shown]
	v_and_b32_e32 v10, -16, v10
	v_add_co_u32_e32 v10, vcc, v17, v10
	v_addc_co_u32_e32 v1, vcc, v1, v11, vcc
	v_add_co_u32_e32 v10, vcc, 16, v10
	v_addc_co_u32_e32 v11, vcc, 0, v1, vcc
	s_mov_b64 s[18:19], -1
	s_branch .LBB28_11
.LBB28_10:                              ;   in Loop: Header=BB28_3 Depth=1
	s_mov_b64 s[0:1], -1
	s_mov_b64 s[18:19], 0
                                        ; implicit-def: $vgpr10_vgpr11
.LBB28_11:                              ;   in Loop: Header=BB28_3 Depth=1
	s_and_b64 vcc, exec, s[0:1]
	s_cbranch_vccz .LBB28_14
; %bb.12:                               ;   in Loop: Header=BB28_3 Depth=1
	s_cmpk_eq_i32 s10, 0x79
                                        ; implicit-def: $vgpr10_vgpr11
	s_cbranch_scc0 .LBB28_14
; %bb.13:                               ;   in Loop: Header=BB28_3 Depth=1
	v_lshlrev_b64 v[10:11], 3, v[8:9]
	v_or_b32_e32 v1, 1, v10
	v_cvt_f64_u32_e32 v[10:11], v11
	v_ldexp_f64 v[10:11], v[10:11], 32
	v_cvt_f64_u32_e32 v[18:19], v1
	v_add_f64 v[10:11], v[10:11], v[18:19]
	v_cmp_gt_f64_e32 vcc, s[16:17], v[10:11]
	v_cndmask_b32_e64 v1, 0, 1, vcc
	v_lshlrev_b32_e32 v1, 8, v1
	v_ldexp_f64 v[10:11], v[10:11], v1
	v_rsq_f64_e32 v[18:19], v[10:11]
	v_cndmask_b32_e32 v1, 0, v16, vcc
	v_cmp_class_f64_e32 vcc, v[10:11], v15
	v_mul_lo_u32 v17, v2, s9
	v_mul_f64 v[20:21], v[10:11], v[18:19]
	v_mul_f64 v[18:19], v[18:19], 0.5
	v_fma_f64 v[22:23], -v[18:19], v[20:21], 0.5
	v_fmac_f64_e32 v[20:21], v[20:21], v[22:23]
	v_fma_f64 v[24:25], -v[20:21], v[20:21], v[10:11]
	v_fmac_f64_e32 v[18:19], v[18:19], v[22:23]
	v_fmac_f64_e32 v[20:21], v[24:25], v[18:19]
	v_fma_f64 v[22:23], -v[20:21], v[20:21], v[10:11]
	v_fmac_f64_e32 v[20:21], v[22:23], v[18:19]
	v_ldexp_f64 v[18:19], v[20:21], v1
	v_cndmask_b32_e32 v11, v19, v11, vcc
	v_cndmask_b32_e32 v10, v18, v10, vcc
	v_add_f64 v[10:11], v[10:11], -1.0
	v_mul_f64 v[10:11], v[10:11], 0.5
	v_trunc_f64_e32 v[10:11], v[10:11]
	v_ldexp_f64 v[18:19], v[10:11], s27
	v_floor_f64_e32 v[18:19], v[18:19]
	v_fmac_f64_e32 v[10:11], 0xc1f00000, v[18:19]
	v_cvt_u32_f64_e32 v10, v[10:11]
	v_cvt_u32_f64_e32 v11, v[18:19]
	v_mad_u64_u32 v[18:19], s[0:1], v10, v10, v[10:11]
	v_mul_lo_u32 v1, v10, v11
	v_add3_u32 v19, v1, v19, v1
	v_lshrrev_b64 v[18:19], 1, v[18:19]
	v_sub_co_u32_e32 v8, vcc, v8, v18
	v_mul_lo_u32 v1, v3, s8
	v_mad_u64_u32 v[2:3], s[0:1], v2, s8, 0
	v_subb_co_u32_e32 v9, vcc, v9, v19, vcc
	v_add3_u32 v3, v3, v17, v1
	v_pk_mov_b32 v[18:19], s[6:7], s[6:7] op_sel:[0,1]
	v_mul_lo_u32 v1, s7, v10
	v_mad_u64_u32 v[18:19], s[0:1], s6, v10, v[18:19]
	v_mul_lo_u32 v10, s6, v11
	v_lshlrev_b64 v[2:3], 4, v[2:3]
	v_add3_u32 v19, v1, v19, v10
	v_mov_b32_e32 v1, s21
	v_add_co_u32_e32 v10, vcc, s20, v2
	v_addc_co_u32_e32 v1, vcc, v1, v3, vcc
	v_lshlrev_b64 v[2:3], 4, v[18:19]
	v_add_co_u32_e32 v10, vcc, v10, v2
	v_addc_co_u32_e32 v1, vcc, v1, v3, vcc
	v_lshlrev_b64 v[2:3], 4, v[8:9]
	v_add_co_u32_e32 v10, vcc, v10, v2
	v_addc_co_u32_e32 v11, vcc, v1, v3, vcc
	s_mov_b64 s[18:19], -1
.LBB28_14:                              ;   in Loop: Header=BB28_3 Depth=1
	s_and_b64 vcc, exec, s[18:19]
	s_cbranch_vccz .LBB28_2
; %bb.15:                               ;   in Loop: Header=BB28_3 Depth=1
	v_mov_b32_e32 v1, v0
	v_mov_b32_e32 v2, v0
	;; [unrolled: 1-line block ×3, first 2 shown]
	global_store_dwordx4 v[10:11], v[0:3], off
	s_branch .LBB28_2
.LBB28_16:
	s_endpgm
	.section	.rodata,"a",@progbits
	.p2align	6, 0x0
	.amdhsa_kernel _ZL18rocblas_trtri_fillILi128E19rocblas_complex_numIdEPKPS1_EvP15_rocblas_handle13rocblas_fill_ililT1_llii
		.amdhsa_group_segment_fixed_size 0
		.amdhsa_private_segment_fixed_size 0
		.amdhsa_kernarg_size 328
		.amdhsa_user_sgpr_count 6
		.amdhsa_user_sgpr_private_segment_buffer 1
		.amdhsa_user_sgpr_dispatch_ptr 0
		.amdhsa_user_sgpr_queue_ptr 0
		.amdhsa_user_sgpr_kernarg_segment_ptr 1
		.amdhsa_user_sgpr_dispatch_id 0
		.amdhsa_user_sgpr_flat_scratch_init 0
		.amdhsa_user_sgpr_kernarg_preload_length 0
		.amdhsa_user_sgpr_kernarg_preload_offset 0
		.amdhsa_user_sgpr_private_segment_size 0
		.amdhsa_uses_dynamic_stack 0
		.amdhsa_system_sgpr_private_segment_wavefront_offset 0
		.amdhsa_system_sgpr_workgroup_id_x 1
		.amdhsa_system_sgpr_workgroup_id_y 0
		.amdhsa_system_sgpr_workgroup_id_z 1
		.amdhsa_system_sgpr_workgroup_info 0
		.amdhsa_system_vgpr_workitem_id 0
		.amdhsa_next_free_vgpr 26
		.amdhsa_next_free_sgpr 28
		.amdhsa_accum_offset 28
		.amdhsa_reserve_vcc 1
		.amdhsa_reserve_flat_scratch 0
		.amdhsa_float_round_mode_32 0
		.amdhsa_float_round_mode_16_64 0
		.amdhsa_float_denorm_mode_32 3
		.amdhsa_float_denorm_mode_16_64 3
		.amdhsa_dx10_clamp 1
		.amdhsa_ieee_mode 1
		.amdhsa_fp16_overflow 0
		.amdhsa_tg_split 0
		.amdhsa_exception_fp_ieee_invalid_op 0
		.amdhsa_exception_fp_denorm_src 0
		.amdhsa_exception_fp_ieee_div_zero 0
		.amdhsa_exception_fp_ieee_overflow 0
		.amdhsa_exception_fp_ieee_underflow 0
		.amdhsa_exception_fp_ieee_inexact 0
		.amdhsa_exception_int_div_zero 0
	.end_amdhsa_kernel
	.section	.text._ZL18rocblas_trtri_fillILi128E19rocblas_complex_numIdEPKPS1_EvP15_rocblas_handle13rocblas_fill_ililT1_llii,"axG",@progbits,_ZL18rocblas_trtri_fillILi128E19rocblas_complex_numIdEPKPS1_EvP15_rocblas_handle13rocblas_fill_ililT1_llii,comdat
.Lfunc_end28:
	.size	_ZL18rocblas_trtri_fillILi128E19rocblas_complex_numIdEPKPS1_EvP15_rocblas_handle13rocblas_fill_ililT1_llii, .Lfunc_end28-_ZL18rocblas_trtri_fillILi128E19rocblas_complex_numIdEPKPS1_EvP15_rocblas_handle13rocblas_fill_ililT1_llii
                                        ; -- End function
	.section	.AMDGPU.csdata,"",@progbits
; Kernel info:
; codeLenInByte = 1976
; NumSgprs: 32
; NumVgprs: 26
; NumAgprs: 0
; TotalNumVgprs: 26
; ScratchSize: 0
; MemoryBound: 0
; FloatMode: 240
; IeeeMode: 1
; LDSByteSize: 0 bytes/workgroup (compile time only)
; SGPRBlocks: 3
; VGPRBlocks: 3
; NumSGPRsForWavesPerEU: 32
; NumVGPRsForWavesPerEU: 26
; AccumOffset: 28
; Occupancy: 8
; WaveLimiterHint : 0
; COMPUTE_PGM_RSRC2:SCRATCH_EN: 0
; COMPUTE_PGM_RSRC2:USER_SGPR: 6
; COMPUTE_PGM_RSRC2:TRAP_HANDLER: 0
; COMPUTE_PGM_RSRC2:TGID_X_EN: 1
; COMPUTE_PGM_RSRC2:TGID_Y_EN: 0
; COMPUTE_PGM_RSRC2:TGID_Z_EN: 1
; COMPUTE_PGM_RSRC2:TIDIG_COMP_CNT: 0
; COMPUTE_PGM_RSRC3_GFX90A:ACCUM_OFFSET: 6
; COMPUTE_PGM_RSRC3_GFX90A:TG_SPLIT: 0
	.section	.text._ZL26rocblas_trtri_small_kernelILi16E19rocblas_complex_numIdEPKPKS1_PKPS1_Ev13rocblas_fill_17rocblas_diagonal_iT1_lillT2_lilli,"axG",@progbits,_ZL26rocblas_trtri_small_kernelILi16E19rocblas_complex_numIdEPKPKS1_PKPS1_Ev13rocblas_fill_17rocblas_diagonal_iT1_lillT2_lilli,comdat
	.globl	_ZL26rocblas_trtri_small_kernelILi16E19rocblas_complex_numIdEPKPKS1_PKPS1_Ev13rocblas_fill_17rocblas_diagonal_iT1_lillT2_lilli ; -- Begin function _ZL26rocblas_trtri_small_kernelILi16E19rocblas_complex_numIdEPKPKS1_PKPS1_Ev13rocblas_fill_17rocblas_diagonal_iT1_lillT2_lilli
	.p2align	8
	.type	_ZL26rocblas_trtri_small_kernelILi16E19rocblas_complex_numIdEPKPKS1_PKPS1_Ev13rocblas_fill_17rocblas_diagonal_iT1_lillT2_lilli,@function
_ZL26rocblas_trtri_small_kernelILi16E19rocblas_complex_numIdEPKPKS1_PKPS1_Ev13rocblas_fill_17rocblas_diagonal_iT1_lillT2_lilli: ; @_ZL26rocblas_trtri_small_kernelILi16E19rocblas_complex_numIdEPKPKS1_PKPS1_Ev13rocblas_fill_17rocblas_diagonal_iT1_lillT2_lilli
; %bb.0:
	s_load_dwordx4 s[8:11], s[4:5], 0x0
	s_waitcnt lgkmcnt(0)
	s_cmp_lt_i32 s10, 1
	s_cbranch_scc1 .LBB29_51
; %bb.1:
	s_load_dwordx4 s[16:19], s[4:5], 0x30
	s_load_dwordx2 s[20:21], s[4:5], 0x40
	s_mov_b32 s0, s7
	s_mov_b32 s1, 0
	s_lshl_b64 s[26:27], s[0:1], 3
	s_waitcnt lgkmcnt(0)
	s_add_u32 s0, s18, s26
	s_addc_u32 s1, s19, s27
	s_load_dwordx2 s[18:19], s[0:1], 0x0
	v_cmp_le_u32_e64 s[2:3], s10, v0
	v_cmp_gt_u32_e64 s[0:1], s10, v0
	s_and_saveexec_b64 s[22:23], s[0:1]
	s_cbranch_execz .LBB29_14
; %bb.2:
	s_load_dwordx4 s[12:15], s[4:5], 0x10
	s_load_dword s24, s[4:5], 0x20
	s_mul_i32 s7, s6, s17
	s_mul_hi_u32 s11, s6, s16
	s_mul_i32 s16, s6, s16
	s_waitcnt lgkmcnt(0)
	s_add_u32 s12, s12, s26
	s_addc_u32 s13, s13, s27
	s_load_dwordx2 s[12:13], s[12:13], 0x0
	s_add_i32 s17, s11, s7
	s_cmpk_lg_i32 s8, 0x7a
	s_mov_b64 s[26:27], -1
	s_cbranch_scc0 .LBB29_6
; %bb.3:
	s_ashr_i32 s25, s24, 31
	s_lshl_b32 s7, s10, 4
	s_ashr_i32 s11, s10, 31
	s_add_u32 s26, s10, -1
	s_addc_u32 s11, s11, -1
	s_mul_i32 s27, s26, s25
	s_mul_hi_u32 s28, s26, s24
	s_add_i32 s27, s28, s27
	s_mul_i32 s11, s11, s24
	s_add_i32 s27, s27, s11
	s_mul_i32 s26, s26, s24
	s_lshl_b64 s[26:27], s[26:27], 4
	s_lshl_b64 s[28:29], s[16:17], 4
	s_add_u32 s11, s26, s28
	s_addc_u32 s28, s27, s29
	s_lshl_b64 s[26:27], s[14:15], 4
	s_add_u32 s11, s11, s26
	s_addc_u32 s26, s28, s27
	s_waitcnt lgkmcnt(0)
	s_add_u32 s11, s12, s11
	v_lshlrev_b32_e32 v2, 4, v0
	s_addc_u32 s26, s13, s26
	s_lshl_b64 s[28:29], s[24:25], 4
	v_sub_u32_e32 v1, s7, v2
	v_add_co_u32_e32 v2, vcc, s11, v2
	s_sub_u32 s11, 0, s28
	v_mov_b32_e32 v3, s26
	s_subb_u32 s25, 0, s29
	v_add_u32_e32 v1, -16, v1
	v_addc_co_u32_e32 v3, vcc, 0, v3, vcc
	s_mov_b64 s[26:27], 0
	v_mov_b32_e32 v4, s25
	s_mov_b32 s25, s10
.LBB29_4:                               ; =>This Inner Loop Header: Depth=1
	global_load_dwordx4 v[6:9], v[2:3], off
	v_add_co_u32_e32 v2, vcc, s11, v2
	s_add_i32 s25, s25, -1
	v_addc_co_u32_e32 v3, vcc, v3, v4, vcc
	v_cmp_le_i32_e32 vcc, s25, v0
	s_or_b64 s[26:27], vcc, s[26:27]
	s_waitcnt vmcnt(0)
	ds_write2_b64 v1, v[6:7], v[8:9] offset1:1
	v_add_u32_e32 v1, s7, v1
	s_andn2_b64 exec, exec, s[26:27]
	s_cbranch_execnz .LBB29_4
; %bb.5:
	s_or_b64 exec, exec, s[26:27]
	s_mov_b64 s[26:27], 0
.LBB29_6:
	s_and_b64 vcc, exec, s[26:27]
	s_cbranch_vccz .LBB29_14
; %bb.7:
	v_mov_b32_e32 v1, 0
	s_ashr_i32 s25, s24, 31
	v_add_u32_e32 v4, 1, v0
	v_cmp_lt_u32_e32 vcc, 2, v0
	s_and_saveexec_b64 s[26:27], vcc
	s_cbranch_execz .LBB29_11
; %bb.8:
	s_lshl_b64 s[28:29], s[14:15], 4
	s_waitcnt lgkmcnt(0)
	s_add_u32 s7, s12, s28
	s_addc_u32 s11, s13, s29
	s_lshl_b64 s[28:29], s[16:17], 4
	s_add_u32 s7, s7, s28
	s_addc_u32 s11, s11, s29
	v_lshlrev_b32_e32 v5, 4, v0
	v_mov_b32_e32 v1, s11
	v_add_co_u32_e32 v2, vcc, s7, v5
	s_mul_hi_i32 s41, s24, 48
	s_lshl_b64 s[28:29], s[24:25], 6
	s_lshl_b64 s[30:31], s[24:25], 5
	;; [unrolled: 1-line block ×3, first 2 shown]
	v_addc_co_u32_e32 v3, vcc, 0, v1, vcc
	v_and_b32_e32 v1, 28, v4
	s_mul_i32 s7, s24, 48
	s_lshl_b32 s11, s10, 4
	s_lshl_b32 s33, s10, 6
	;; [unrolled: 1-line block ×3, first 2 shown]
	s_mul_i32 s39, s10, 48
	s_mov_b32 s40, 0
	s_mov_b64 s[36:37], 0
	v_mov_b32_e32 v6, s35
	v_mov_b32_e32 v7, s31
	;; [unrolled: 1-line block ×4, first 2 shown]
.LBB29_9:                               ; =>This Inner Loop Header: Depth=1
	v_add_co_u32_e32 v26, vcc, s34, v2
	v_addc_co_u32_e32 v27, vcc, v3, v6, vcc
	v_add_co_u32_e32 v28, vcc, s30, v2
	v_addc_co_u32_e32 v29, vcc, v3, v7, vcc
	global_load_dwordx4 v[10:13], v[2:3], off
	v_add_co_u32_e32 v30, vcc, s7, v2
	v_addc_co_u32_e32 v31, vcc, v3, v8, vcc
	global_load_dwordx4 v[14:17], v[26:27], off
	global_load_dwordx4 v[18:21], v[28:29], off
	;; [unrolled: 1-line block ×3, first 2 shown]
	v_add_co_u32_e32 v2, vcc, s28, v2
	s_add_i32 s40, s40, 4
	v_addc_co_u32_e32 v3, vcc, v3, v9, vcc
	v_cmp_eq_u32_e32 vcc, s40, v1
	v_add_u32_e32 v26, s11, v5
	v_add_u32_e32 v27, s38, v5
	;; [unrolled: 1-line block ×3, first 2 shown]
	s_or_b64 s[36:37], vcc, s[36:37]
	s_waitcnt vmcnt(3)
	ds_write2_b64 v5, v[10:11], v[12:13] offset1:1
	v_add_u32_e32 v5, s33, v5
	s_waitcnt vmcnt(2)
	ds_write2_b64 v26, v[14:15], v[16:17] offset1:1
	s_waitcnt vmcnt(1)
	ds_write2_b64 v27, v[18:19], v[20:21] offset1:1
	;; [unrolled: 2-line block ×3, first 2 shown]
	s_andn2_b64 exec, exec, s[36:37]
	s_cbranch_execnz .LBB29_9
; %bb.10:
	s_or_b64 exec, exec, s[36:37]
.LBB29_11:
	s_or_b64 exec, exec, s[26:27]
	v_and_b32_e32 v4, 3, v4
	v_cmp_ne_u32_e32 vcc, 0, v4
	s_and_b64 exec, exec, vcc
	s_cbranch_execz .LBB29_14
; %bb.12:
	v_mul_lo_u32 v2, v1, s10
	s_lshl_b32 s7, s10, 4
	s_lshl_b64 s[16:17], s[16:17], 4
	s_lshl_b64 s[14:15], s[14:15], 4
	v_add_lshl_u32 v5, v0, v2, 4
	v_mad_i64_i32 v[2:3], s[26:27], s24, v1, 0
	s_add_u32 s11, s14, s16
	v_lshlrev_b64 v[2:3], 4, v[2:3]
	s_addc_u32 s14, s15, s17
	v_mov_b32_e32 v1, s14
	v_add_co_u32_e32 v2, vcc, s11, v2
	v_addc_co_u32_e32 v1, vcc, v1, v3, vcc
	v_lshlrev_b32_e32 v3, 4, v0
	v_add_co_u32_e32 v2, vcc, v2, v3
	v_addc_co_u32_e32 v1, vcc, 0, v1, vcc
	s_waitcnt lgkmcnt(0)
	v_mov_b32_e32 v3, s13
	v_add_co_u32_e32 v2, vcc, s12, v2
	s_lshl_b64 s[12:13], s[24:25], 4
	v_addc_co_u32_e32 v3, vcc, v3, v1, vcc
	s_mov_b64 s[14:15], 0
	v_mov_b32_e32 v1, s13
.LBB29_13:                              ; =>This Inner Loop Header: Depth=1
	global_load_dwordx4 v[6:9], v[2:3], off
	v_add_co_u32_e32 v2, vcc, s12, v2
	v_addc_co_u32_e32 v3, vcc, v3, v1, vcc
	v_add_u32_e32 v4, -1, v4
	v_cmp_eq_u32_e32 vcc, 0, v4
	s_or_b64 s[14:15], vcc, s[14:15]
	s_waitcnt vmcnt(0)
	ds_write2_b64 v5, v[6:7], v[8:9] offset1:1
	v_add_u32_e32 v5, s7, v5
	s_andn2_b64 exec, exec, s[14:15]
	s_cbranch_execnz .LBB29_13
.LBB29_14:
	s_or_b64 exec, exec, s[22:23]
	s_waitcnt lgkmcnt(0)
	; wave barrier
	s_waitcnt lgkmcnt(0)
                                        ; implicit-def: $vgpr10
	s_waitcnt lgkmcnt(0)
	s_and_saveexec_b64 s[12:13], s[2:3]
	s_xor_b64 s[2:3], exec, s[12:13]
; %bb.15:
	v_mad_u64_u32 v[10:11], s[12:13], v0, s10, v[0:1]
; %bb.16:
	s_andn2_saveexec_b64 s[12:13], s[2:3]
	s_cbranch_execz .LBB29_27
; %bb.17:
	v_mad_u64_u32 v[10:11], s[2:3], v0, s10, v[0:1]
	s_cmpk_eq_i32 s9, 0x84
	v_lshlrev_b32_e32 v1, 4, v10
	s_cbranch_scc1 .LBB29_25
; %bb.18:
	ds_read_b128 v[2:5], v1
	v_mov_b32_e32 v6, 0
	v_pk_mov_b32 v[8:9], 0, 0
	v_mov_b32_e32 v7, 0x3ff00000
	s_waitcnt lgkmcnt(0)
	v_cmp_neq_f64_e32 vcc, 0, v[2:3]
	v_cmp_neq_f64_e64 s[2:3], 0, v[4:5]
	s_or_b64 s[14:15], vcc, s[2:3]
	s_and_saveexec_b64 s[2:3], s[14:15]
	s_cbranch_execz .LBB29_24
; %bb.19:
	v_xor_b32_e32 v6, 0x80000000, v3
	v_cmp_gt_f64_e32 vcc, 0, v[2:3]
	v_cndmask_b32_e32 v7, v3, v6, vcc
	v_cndmask_b32_e32 v6, v2, v2, vcc
	v_xor_b32_e32 v8, 0x80000000, v5
	v_cmp_gt_f64_e32 vcc, 0, v[4:5]
	v_cndmask_b32_e32 v9, v5, v8, vcc
	v_cndmask_b32_e32 v8, v4, v4, vcc
	v_cmp_ngt_f64_e32 vcc, v[6:7], v[8:9]
                                        ; implicit-def: $vgpr8_vgpr9
	s_and_saveexec_b64 s[14:15], vcc
	s_xor_b64 s[14:15], exec, s[14:15]
	s_cbranch_execz .LBB29_21
; %bb.20:
	v_div_scale_f64 v[6:7], s[16:17], v[4:5], v[4:5], v[2:3]
	v_rcp_f64_e32 v[8:9], v[6:7]
	v_div_scale_f64 v[12:13], vcc, v[2:3], v[4:5], v[2:3]
	v_fma_f64 v[14:15], -v[6:7], v[8:9], 1.0
	v_fmac_f64_e32 v[8:9], v[8:9], v[14:15]
	v_fma_f64 v[14:15], -v[6:7], v[8:9], 1.0
	v_fmac_f64_e32 v[8:9], v[8:9], v[14:15]
	v_mul_f64 v[14:15], v[12:13], v[8:9]
	v_fma_f64 v[6:7], -v[6:7], v[14:15], v[12:13]
	v_div_fmas_f64 v[6:7], v[6:7], v[8:9], v[14:15]
	v_div_fixup_f64 v[6:7], v[6:7], v[4:5], v[2:3]
	v_fmac_f64_e32 v[4:5], v[2:3], v[6:7]
	v_div_scale_f64 v[2:3], s[16:17], v[4:5], v[4:5], 1.0
	v_rcp_f64_e32 v[8:9], v[2:3]
	v_fma_f64 v[12:13], -v[2:3], v[8:9], 1.0
	v_fmac_f64_e32 v[8:9], v[8:9], v[12:13]
	v_fma_f64 v[12:13], -v[2:3], v[8:9], 1.0
	v_fmac_f64_e32 v[8:9], v[8:9], v[12:13]
	v_div_scale_f64 v[12:13], vcc, 1.0, v[4:5], 1.0
	v_mul_f64 v[14:15], v[12:13], v[8:9]
	v_fma_f64 v[2:3], -v[2:3], v[14:15], v[12:13]
	s_nop 1
	v_div_fmas_f64 v[2:3], v[2:3], v[8:9], v[14:15]
	v_div_fixup_f64 v[8:9], v[2:3], v[4:5], 1.0
	v_mul_f64 v[6:7], v[6:7], v[8:9]
	v_xor_b32_e32 v9, 0x80000000, v9
                                        ; implicit-def: $vgpr2_vgpr3
.LBB29_21:
	s_andn2_saveexec_b64 s[14:15], s[14:15]
	s_cbranch_execz .LBB29_23
; %bb.22:
	v_div_scale_f64 v[6:7], s[16:17], v[2:3], v[2:3], v[4:5]
	v_rcp_f64_e32 v[8:9], v[6:7]
	v_div_scale_f64 v[12:13], vcc, v[4:5], v[2:3], v[4:5]
	v_fma_f64 v[14:15], -v[6:7], v[8:9], 1.0
	v_fmac_f64_e32 v[8:9], v[8:9], v[14:15]
	v_fma_f64 v[14:15], -v[6:7], v[8:9], 1.0
	v_fmac_f64_e32 v[8:9], v[8:9], v[14:15]
	v_mul_f64 v[14:15], v[12:13], v[8:9]
	v_fma_f64 v[6:7], -v[6:7], v[14:15], v[12:13]
	v_div_fmas_f64 v[6:7], v[6:7], v[8:9], v[14:15]
	v_div_fixup_f64 v[8:9], v[6:7], v[2:3], v[4:5]
	v_fmac_f64_e32 v[2:3], v[4:5], v[8:9]
	v_div_scale_f64 v[4:5], s[16:17], v[2:3], v[2:3], 1.0
	v_rcp_f64_e32 v[6:7], v[4:5]
	v_fma_f64 v[12:13], -v[4:5], v[6:7], 1.0
	v_fmac_f64_e32 v[6:7], v[6:7], v[12:13]
	v_fma_f64 v[12:13], -v[4:5], v[6:7], 1.0
	v_fmac_f64_e32 v[6:7], v[6:7], v[12:13]
	v_div_scale_f64 v[12:13], vcc, 1.0, v[2:3], 1.0
	v_mul_f64 v[14:15], v[12:13], v[6:7]
	v_fma_f64 v[4:5], -v[4:5], v[14:15], v[12:13]
	s_nop 1
	v_div_fmas_f64 v[4:5], v[4:5], v[6:7], v[14:15]
	v_div_fixup_f64 v[6:7], v[4:5], v[2:3], 1.0
	v_mul_f64 v[8:9], v[8:9], -v[6:7]
.LBB29_23:
	s_or_b64 exec, exec, s[14:15]
.LBB29_24:
	s_or_b64 exec, exec, s[2:3]
	s_branch .LBB29_26
.LBB29_25:
	v_mov_b32_e32 v6, 0
	v_mov_b32_e32 v7, 0x3ff00000
	v_pk_mov_b32 v[8:9], 0, 0
.LBB29_26:
	ds_write_b128 v1, v[6:9]
.LBB29_27:
	s_or_b64 exec, exec, s[12:13]
	s_lshl_b32 s11, s10, 4
	v_lshlrev_b32_e32 v1, 4, v10
	s_mov_b32 s7, 16
	s_add_i32 s9, s11, 16
	v_add_lshl_u32 v6, v0, s10, 4
	s_mov_b32 s12, 0
	s_waitcnt lgkmcnt(0)
	; wave barrier
	s_waitcnt lgkmcnt(0)
	s_branch .LBB29_29
.LBB29_28:                              ;   in Loop: Header=BB29_29 Depth=1
	s_add_i32 s7, s7, s9
	s_cmp_eq_u32 s12, s10
	v_add_u32_e32 v6, s11, v6
	s_waitcnt lgkmcnt(0)
	; wave barrier
	s_cbranch_scc1 .LBB29_38
.LBB29_29:                              ; =>This Loop Header: Depth=1
                                        ;     Child Loop BB29_34 Depth 2
	v_pk_mov_b32 v[2:3], 0, 0
	s_mul_i32 s13, s12, s10
	v_cmp_lt_u32_e32 vcc, s12, v0
	v_add_lshl_u32 v7, s13, v0, 4
	v_pk_mov_b32 v[4:5], v[2:3], v[2:3] op_sel:[0,1]
	s_and_saveexec_b64 s[2:3], vcc
	s_cbranch_execz .LBB29_31
; %bb.30:                               ;   in Loop: Header=BB29_29 Depth=1
	s_add_i32 s13, s13, s12
	s_lshl_b32 s13, s13, 4
	v_mov_b32_e32 v2, s13
	ds_read_b128 v[2:5], v2
	ds_read_b128 v[8:11], v7
	s_waitcnt lgkmcnt(0)
	v_mul_f64 v[12:13], v[4:5], v[10:11]
	v_mul_f64 v[10:11], v[2:3], v[10:11]
	v_fma_f64 v[2:3], v[2:3], v[8:9], -v[12:13]
	v_fmac_f64_e32 v[10:11], v[4:5], v[8:9]
	v_add_f64 v[2:3], v[2:3], 0
	v_add_f64 v[4:5], v[10:11], 0
.LBB29_31:                              ;   in Loop: Header=BB29_29 Depth=1
	s_or_b64 exec, exec, s[2:3]
	s_add_i32 s12, s12, 1
	s_cmp_ge_i32 s12, s10
	s_waitcnt lgkmcnt(0)
	; wave barrier
	s_cbranch_scc1 .LBB29_28
; %bb.32:                               ;   in Loop: Header=BB29_29 Depth=1
	v_mov_b32_e32 v8, v6
	s_mov_b32 s13, s7
	s_mov_b32 s14, s12
	s_branch .LBB29_34
.LBB29_33:                              ;   in Loop: Header=BB29_34 Depth=2
	s_or_b64 exec, exec, s[2:3]
	s_add_i32 s14, s14, 1
	s_add_i32 s13, s13, 16
	s_cmp_ge_i32 s14, s10
	v_add_u32_e32 v8, s11, v8
	s_waitcnt lgkmcnt(0)
	; wave barrier
	s_cbranch_scc1 .LBB29_28
.LBB29_34:                              ;   Parent Loop BB29_29 Depth=1
                                        ; =>  This Inner Loop Header: Depth=2
	v_cmp_eq_u32_e32 vcc, s14, v0
	s_and_saveexec_b64 s[2:3], vcc
	s_cbranch_execz .LBB29_36
; %bb.35:                               ;   in Loop: Header=BB29_34 Depth=2
	ds_read_b128 v[10:13], v1
	v_add_f64 v[16:17], -v[2:3], 0
	s_waitcnt lgkmcnt(0)
	v_mul_f64 v[14:15], v[4:5], v[12:13]
	v_mul_f64 v[18:19], v[4:5], v[10:11]
	v_fmac_f64_e32 v[14:15], v[16:17], v[10:11]
	v_fma_f64 v[16:17], v[16:17], v[12:13], -v[18:19]
	ds_write_b128 v7, v[14:17]
.LBB29_36:                              ;   in Loop: Header=BB29_34 Depth=2
	s_or_b64 exec, exec, s[2:3]
	v_cmp_lt_u32_e32 vcc, s14, v0
	s_waitcnt lgkmcnt(0)
	; wave barrier
	s_waitcnt lgkmcnt(0)
	s_and_saveexec_b64 s[2:3], vcc
	s_cbranch_execz .LBB29_33
; %bb.37:                               ;   in Loop: Header=BB29_34 Depth=2
	v_mov_b32_e32 v9, s13
	ds_read_b128 v[10:13], v8
	ds_read_b128 v[14:17], v9
	s_waitcnt lgkmcnt(0)
	v_mul_f64 v[18:19], v[16:17], v[12:13]
	v_mul_f64 v[12:13], v[14:15], v[12:13]
	v_fma_f64 v[14:15], v[14:15], v[10:11], -v[18:19]
	v_fmac_f64_e32 v[12:13], v[16:17], v[10:11]
	v_add_f64 v[2:3], v[2:3], v[14:15]
	v_add_f64 v[4:5], v[4:5], v[12:13]
	s_branch .LBB29_33
.LBB29_38:
	s_and_saveexec_b64 s[2:3], s[0:1]
	s_cbranch_execz .LBB29_51
; %bb.39:
	s_load_dwordx2 s[2:3], s[4:5], 0x58
	s_load_dword s0, s[4:5], 0x48
	s_mov_b64 s[4:5], -1
	v_lshlrev_b32_e32 v1, 4, v0
	s_waitcnt lgkmcnt(0)
	s_mul_i32 s1, s6, s3
	s_mul_hi_u32 s3, s6, s2
	s_add_i32 s3, s3, s1
	s_mul_i32 s2, s6, s2
	s_cmpk_lg_i32 s8, 0x7a
	s_cbranch_scc0 .LBB29_43
; %bb.40:
	s_add_i32 s6, s10, -1
	s_ashr_i32 s1, s0, 31
	s_mul_i32 s7, s1, s6
	s_mul_hi_u32 s8, s0, s6
	s_add_i32 s7, s8, s7
	s_mul_i32 s6, s0, s6
	s_lshl_b64 s[4:5], s[2:3], 4
	s_lshl_b64 s[6:7], s[6:7], 4
	s_add_u32 s6, s4, s6
	s_addc_u32 s7, s5, s7
	s_lshl_b64 s[4:5], s[20:21], 4
	s_add_u32 s4, s6, s4
	s_addc_u32 s5, s7, s5
	s_add_u32 s4, s18, s4
	s_addc_u32 s5, s19, s5
	s_lshl_b64 s[6:7], s[0:1], 4
	v_lshlrev_b32_e32 v4, 4, v0
	s_sub_u32 s1, 0, s6
	v_mov_b32_e32 v3, s5
	v_add_co_u32_e32 v2, vcc, s4, v4
	s_subb_u32 s6, 0, s7
	v_sub_u32_e32 v4, s11, v4
	v_addc_co_u32_e32 v3, vcc, 0, v3, vcc
	s_mov_b64 s[4:5], 0
	v_add_u32_e32 v4, -16, v4
	v_mov_b32_e32 v5, s6
	s_mov_b32 s6, s10
.LBB29_41:                              ; =>This Inner Loop Header: Depth=1
	ds_read2_b64 v[6:9], v4 offset1:1
	s_add_i32 s6, s6, -1
	v_cmp_le_i32_e32 vcc, s6, v0
	s_or_b64 s[4:5], vcc, s[4:5]
	v_add_u32_e32 v4, s11, v4
	s_waitcnt lgkmcnt(0)
	global_store_dwordx4 v[2:3], v[6:9], off
	v_add_co_u32_e32 v2, vcc, s1, v2
	v_addc_co_u32_e32 v3, vcc, v3, v5, vcc
	s_andn2_b64 exec, exec, s[4:5]
	s_cbranch_execnz .LBB29_41
; %bb.42:
	s_or_b64 exec, exec, s[4:5]
	s_mov_b64 s[4:5], 0
.LBB29_43:
	s_and_b64 vcc, exec, s[4:5]
	s_cbranch_vccz .LBB29_51
; %bb.44:
	v_mov_b32_e32 v4, 0
	s_ashr_i32 s1, s0, 31
	v_add_u32_e32 v5, 1, v0
	v_cmp_lt_u32_e32 vcc, 2, v0
	s_and_saveexec_b64 s[4:5], vcc
	s_cbranch_execz .LBB29_48
; %bb.45:
	s_lshl_b64 s[6:7], s[20:21], 4
	s_add_u32 s8, s18, s6
	s_addc_u32 s9, s19, s7
	s_lshl_b64 s[6:7], s[2:3], 4
	s_add_u32 s6, s8, s6
	s_addc_u32 s7, s9, s7
	v_mov_b32_e32 v3, s7
	v_add_co_u32_e32 v2, vcc, s6, v1
	s_mul_hi_i32 s25, s0, 48
	s_lshl_b64 s[6:7], s[0:1], 6
	s_lshl_b64 s[8:9], s[0:1], 5
	;; [unrolled: 1-line block ×3, first 2 shown]
	v_addc_co_u32_e32 v3, vcc, 0, v3, vcc
	v_and_b32_e32 v4, 28, v5
	s_mul_i32 s16, s0, 48
	s_lshl_b32 s17, s10, 6
	s_lshl_b32 s22, s10, 5
	s_mul_i32 s23, s10, 48
	s_mov_b32 s24, 0
	s_mov_b64 s[14:15], 0
	v_mov_b32_e32 v6, s13
	v_mov_b32_e32 v7, s9
	;; [unrolled: 1-line block ×5, first 2 shown]
.LBB29_46:                              ; =>This Inner Loop Header: Depth=1
	v_add_co_u32_e32 v28, vcc, s12, v2
	v_addc_co_u32_e32 v29, vcc, v3, v6, vcc
	ds_read2_b64 v[12:15], v10 offset1:1
	v_add_co_u32_e32 v30, vcc, s8, v2
	v_add_u32_e32 v11, s11, v10
	v_add_u32_e32 v20, s22, v10
	v_addc_co_u32_e32 v31, vcc, v3, v7, vcc
	v_add_u32_e32 v24, s23, v10
	v_add_co_u32_e32 v32, vcc, s16, v2
	ds_read2_b64 v[16:19], v11 offset1:1
	ds_read2_b64 v[20:23], v20 offset1:1
	;; [unrolled: 1-line block ×3, first 2 shown]
	v_addc_co_u32_e32 v33, vcc, v3, v8, vcc
	s_add_i32 s24, s24, 4
	v_cmp_eq_u32_e32 vcc, s24, v4
	s_or_b64 s[14:15], vcc, s[14:15]
	s_waitcnt lgkmcnt(3)
	global_store_dwordx4 v[2:3], v[12:15], off
	v_add_co_u32_e32 v2, vcc, s6, v2
	v_add_u32_e32 v10, s17, v10
	v_addc_co_u32_e32 v3, vcc, v3, v9, vcc
	s_waitcnt lgkmcnt(2)
	global_store_dwordx4 v[28:29], v[16:19], off
	s_waitcnt lgkmcnt(1)
	global_store_dwordx4 v[30:31], v[20:23], off
	;; [unrolled: 2-line block ×3, first 2 shown]
	s_andn2_b64 exec, exec, s[14:15]
	s_cbranch_execnz .LBB29_46
; %bb.47:
	s_or_b64 exec, exec, s[14:15]
.LBB29_48:
	s_or_b64 exec, exec, s[4:5]
	v_and_b32_e32 v5, 3, v5
	v_cmp_ne_u32_e32 vcc, 0, v5
	s_and_b64 exec, exec, vcc
	s_cbranch_execz .LBB29_51
; %bb.49:
	v_mad_i64_i32 v[2:3], s[4:5], s0, v4, 0
	s_lshl_b64 s[2:3], s[2:3], 4
	s_lshl_b64 s[4:5], s[20:21], 4
	s_add_u32 s2, s4, s2
	v_lshlrev_b64 v[2:3], 4, v[2:3]
	s_addc_u32 s3, s5, s3
	v_mov_b32_e32 v6, s3
	v_add_co_u32_e32 v2, vcc, s2, v2
	v_addc_co_u32_e32 v3, vcc, v6, v3, vcc
	v_add_co_u32_e32 v1, vcc, v2, v1
	v_addc_co_u32_e32 v3, vcc, 0, v3, vcc
	v_mov_b32_e32 v6, s19
	v_add_co_u32_e32 v2, vcc, s18, v1
	s_lshl_b64 s[0:1], s[0:1], 4
	v_mul_lo_u32 v1, v4, s10
	v_addc_co_u32_e32 v3, vcc, v6, v3, vcc
	v_add_lshl_u32 v0, v0, v1, 4
	s_mov_b64 s[2:3], 0
	v_mov_b32_e32 v1, s1
.LBB29_50:                              ; =>This Inner Loop Header: Depth=1
	ds_read2_b64 v[6:9], v0 offset1:1
	v_add_u32_e32 v5, -1, v5
	v_cmp_eq_u32_e32 vcc, 0, v5
	s_or_b64 s[2:3], vcc, s[2:3]
	v_add_u32_e32 v0, s11, v0
	s_waitcnt lgkmcnt(0)
	global_store_dwordx4 v[2:3], v[6:9], off
	v_add_co_u32_e32 v2, vcc, s0, v2
	v_addc_co_u32_e32 v3, vcc, v3, v1, vcc
	s_andn2_b64 exec, exec, s[2:3]
	s_cbranch_execnz .LBB29_50
.LBB29_51:
	s_endpgm
	.section	.rodata,"a",@progbits
	.p2align	6, 0x0
	.amdhsa_kernel _ZL26rocblas_trtri_small_kernelILi16E19rocblas_complex_numIdEPKPKS1_PKPS1_Ev13rocblas_fill_17rocblas_diagonal_iT1_lillT2_lilli
		.amdhsa_group_segment_fixed_size 4096
		.amdhsa_private_segment_fixed_size 0
		.amdhsa_kernarg_size 100
		.amdhsa_user_sgpr_count 6
		.amdhsa_user_sgpr_private_segment_buffer 1
		.amdhsa_user_sgpr_dispatch_ptr 0
		.amdhsa_user_sgpr_queue_ptr 0
		.amdhsa_user_sgpr_kernarg_segment_ptr 1
		.amdhsa_user_sgpr_dispatch_id 0
		.amdhsa_user_sgpr_flat_scratch_init 0
		.amdhsa_user_sgpr_kernarg_preload_length 0
		.amdhsa_user_sgpr_kernarg_preload_offset 0
		.amdhsa_user_sgpr_private_segment_size 0
		.amdhsa_uses_dynamic_stack 0
		.amdhsa_system_sgpr_private_segment_wavefront_offset 0
		.amdhsa_system_sgpr_workgroup_id_x 1
		.amdhsa_system_sgpr_workgroup_id_y 0
		.amdhsa_system_sgpr_workgroup_id_z 1
		.amdhsa_system_sgpr_workgroup_info 0
		.amdhsa_system_vgpr_workitem_id 0
		.amdhsa_next_free_vgpr 34
		.amdhsa_next_free_sgpr 42
		.amdhsa_accum_offset 36
		.amdhsa_reserve_vcc 1
		.amdhsa_reserve_flat_scratch 0
		.amdhsa_float_round_mode_32 0
		.amdhsa_float_round_mode_16_64 0
		.amdhsa_float_denorm_mode_32 3
		.amdhsa_float_denorm_mode_16_64 3
		.amdhsa_dx10_clamp 1
		.amdhsa_ieee_mode 1
		.amdhsa_fp16_overflow 0
		.amdhsa_tg_split 0
		.amdhsa_exception_fp_ieee_invalid_op 0
		.amdhsa_exception_fp_denorm_src 0
		.amdhsa_exception_fp_ieee_div_zero 0
		.amdhsa_exception_fp_ieee_overflow 0
		.amdhsa_exception_fp_ieee_underflow 0
		.amdhsa_exception_fp_ieee_inexact 0
		.amdhsa_exception_int_div_zero 0
	.end_amdhsa_kernel
	.section	.text._ZL26rocblas_trtri_small_kernelILi16E19rocblas_complex_numIdEPKPKS1_PKPS1_Ev13rocblas_fill_17rocblas_diagonal_iT1_lillT2_lilli,"axG",@progbits,_ZL26rocblas_trtri_small_kernelILi16E19rocblas_complex_numIdEPKPKS1_PKPS1_Ev13rocblas_fill_17rocblas_diagonal_iT1_lillT2_lilli,comdat
.Lfunc_end29:
	.size	_ZL26rocblas_trtri_small_kernelILi16E19rocblas_complex_numIdEPKPKS1_PKPS1_Ev13rocblas_fill_17rocblas_diagonal_iT1_lillT2_lilli, .Lfunc_end29-_ZL26rocblas_trtri_small_kernelILi16E19rocblas_complex_numIdEPKPKS1_PKPS1_Ev13rocblas_fill_17rocblas_diagonal_iT1_lillT2_lilli
                                        ; -- End function
	.section	.AMDGPU.csdata,"",@progbits
; Kernel info:
; codeLenInByte = 2468
; NumSgprs: 46
; NumVgprs: 34
; NumAgprs: 0
; TotalNumVgprs: 34
; ScratchSize: 0
; MemoryBound: 0
; FloatMode: 240
; IeeeMode: 1
; LDSByteSize: 4096 bytes/workgroup (compile time only)
; SGPRBlocks: 5
; VGPRBlocks: 4
; NumSGPRsForWavesPerEU: 46
; NumVGPRsForWavesPerEU: 34
; AccumOffset: 36
; Occupancy: 4
; WaveLimiterHint : 0
; COMPUTE_PGM_RSRC2:SCRATCH_EN: 0
; COMPUTE_PGM_RSRC2:USER_SGPR: 6
; COMPUTE_PGM_RSRC2:TRAP_HANDLER: 0
; COMPUTE_PGM_RSRC2:TGID_X_EN: 1
; COMPUTE_PGM_RSRC2:TGID_Y_EN: 0
; COMPUTE_PGM_RSRC2:TGID_Z_EN: 1
; COMPUTE_PGM_RSRC2:TIDIG_COMP_CNT: 0
; COMPUTE_PGM_RSRC3_GFX90A:ACCUM_OFFSET: 8
; COMPUTE_PGM_RSRC3_GFX90A:TG_SPLIT: 0
	.section	.text._ZL29rocblas_trtri_diagonal_kernelILi16E19rocblas_complex_numIdEPKPKS1_PKPS1_Ev13rocblas_fill_17rocblas_diagonal_iT1_lillT2_lilli,"axG",@progbits,_ZL29rocblas_trtri_diagonal_kernelILi16E19rocblas_complex_numIdEPKPKS1_PKPS1_Ev13rocblas_fill_17rocblas_diagonal_iT1_lillT2_lilli,comdat
	.globl	_ZL29rocblas_trtri_diagonal_kernelILi16E19rocblas_complex_numIdEPKPKS1_PKPS1_Ev13rocblas_fill_17rocblas_diagonal_iT1_lillT2_lilli ; -- Begin function _ZL29rocblas_trtri_diagonal_kernelILi16E19rocblas_complex_numIdEPKPKS1_PKPS1_Ev13rocblas_fill_17rocblas_diagonal_iT1_lillT2_lilli
	.p2align	8
	.type	_ZL29rocblas_trtri_diagonal_kernelILi16E19rocblas_complex_numIdEPKPKS1_PKPS1_Ev13rocblas_fill_17rocblas_diagonal_iT1_lillT2_lilli,@function
_ZL29rocblas_trtri_diagonal_kernelILi16E19rocblas_complex_numIdEPKPKS1_PKPS1_Ev13rocblas_fill_17rocblas_diagonal_iT1_lillT2_lilli: ; @_ZL29rocblas_trtri_diagonal_kernelILi16E19rocblas_complex_numIdEPKPKS1_PKPS1_Ev13rocblas_fill_17rocblas_diagonal_iT1_lillT2_lilli
; %bb.0:
	s_load_dwordx4 s[8:11], s[4:5], 0x0
	s_mov_b32 s0, s7
	s_waitcnt lgkmcnt(0)
	s_ashr_i32 s1, s10, 31
	s_lshr_b32 s1, s1, 27
	s_add_i32 s1, s10, s1
	s_ashr_i32 s1, s1, 5
	v_cvt_f32_u32_e32 v1, s1
	s_sub_i32 s2, 0, s1
	v_rcp_iflag_f32_e32 v1, v1
	v_mul_f32_e32 v1, 0x4f7ffffe, v1
	v_cvt_u32_f32_e32 v1, v1
	v_readfirstlane_b32 s3, v1
	s_mul_i32 s2, s2, s3
	s_mul_hi_u32 s2, s3, s2
	s_add_i32 s3, s3, s2
	s_mul_hi_u32 s2, s6, s3
	s_mul_i32 s3, s2, s1
	s_sub_i32 s3, s6, s3
	s_add_i32 s7, s2, 1
	s_sub_i32 s11, s3, s1
	s_cmp_ge_u32 s3, s1
	s_cselect_b32 s2, s7, s2
	s_cselect_b32 s3, s11, s3
	s_add_i32 s7, s2, 1
	s_cmp_ge_u32 s3, s1
	s_cselect_b32 s30, s7, s2
	s_mul_i32 s1, s30, s1
	s_sub_i32 s31, s6, s1
	s_lshl_b32 s2, s31, 4
	s_cmp_eq_u32 s10, s2
	s_mov_b32 s1, 0
	s_cbranch_scc1 .LBB30_108
; %bb.1:
	s_load_dwordx4 s[12:15], s[4:5], 0x10
	s_load_dwordx4 s[16:19], s[4:5], 0x30
	s_load_dwordx2 s[20:21], s[4:5], 0x40
	s_lshl_b64 s[0:1], s[0:1], 3
	v_mov_b32_e32 v10, v0
	s_waitcnt lgkmcnt(0)
	s_add_u32 s6, s12, s0
	s_addc_u32 s7, s13, s1
	s_add_u32 s0, s18, s0
	s_addc_u32 s1, s19, s1
	s_load_dwordx2 s[22:23], s[6:7], 0x0
	s_load_dwordx2 s[12:13], s[0:1], 0x0
	s_sub_i32 s29, s10, s2
	s_min_u32 s28, s29, 16
	s_lshl_b32 s24, s28, 1
	v_cmp_gt_u32_e64 s[6:7], s28, v0
	v_cmp_le_u32_e64 s[0:1], s28, v0
	v_cmp_gt_u32_e64 s[2:3], s24, v0
	v_cmp_le_u32_e32 vcc, s24, v0
	s_and_saveexec_b64 s[10:11], s[0:1]
	s_cbranch_execz .LBB30_7
; %bb.2:
                                        ; implicit-def: $vgpr10
	s_and_saveexec_b64 s[18:19], vcc
	s_xor_b64 s[18:19], exec, s[18:19]
; %bb.3:
	v_subrev_u32_e32 v10, s24, v0
; %bb.4:
	s_andn2_saveexec_b64 s[18:19], s[18:19]
; %bb.5:
	v_subrev_u32_e32 v10, s28, v0
; %bb.6:
	s_or_b64 exec, exec, s[18:19]
.LBB30_7:
	s_or_b64 exec, exec, s[10:11]
	s_load_dword s10, s[4:5], 0x20
	v_mov_b32_e32 v1, 0x3000
	v_mov_b32_e32 v2, 0x2000
	v_cndmask_b32_e64 v1, 0, v1, s[2:3]
	v_cndmask_b32_e64 v12, v1, v2, s[6:7]
	s_waitcnt lgkmcnt(0)
	s_ashr_i32 s11, s10, 31
	s_lshl_b64 s[6:7], s[10:11], 5
	s_add_u32 s6, s6, 32
	s_addc_u32 s7, s7, 0
	s_mul_i32 s7, s7, s31
	s_mul_hi_u32 s18, s6, s31
	s_add_i32 s7, s18, s7
	s_mul_i32 s17, s30, s17
	s_mul_hi_u32 s18, s30, s16
	s_mul_i32 s6, s6, s31
	s_add_i32 s17, s18, s17
	s_mul_i32 s16, s30, s16
	s_and_saveexec_b64 s[18:19], vcc
	s_xor_b64 s[18:19], exec, s[18:19]
	s_cbranch_execz .LBB30_17
; %bb.8:
	s_mul_i32 s24, s28, 3
	v_cmp_gt_u32_e32 vcc, s24, v0
	s_and_saveexec_b64 s[24:25], vcc
	s_cbranch_execz .LBB30_16
; %bb.9:
	s_cmpk_eq_i32 s8, 0x7a
	s_mov_b64 s[26:27], -1
	s_cbranch_scc1 .LBB30_13
; %bb.10:
	s_add_i32 s34, s28, -1
	s_mul_i32 s27, s28, s34
	s_lshl_b32 s27, s27, 4
	v_lshlrev_b32_e32 v1, 4, v10
	s_lshl_b32 s33, s28, 4
	s_add_i32 s26, s28, 1
	v_add3_u32 v1, s27, v1, v12
	s_sub_i32 s27, 0, s33
	s_lshl_b64 s[36:37], s[16:17], 4
	s_lshl_b64 s[38:39], s[6:7], 4
	s_mov_b32 s35, 0
	s_add_u32 s36, s36, s38
	s_addc_u32 s37, s37, s39
	s_lshl_b64 s[34:35], s[34:35], 4
	s_add_u32 s33, s33, s34
	s_addc_u32 s34, 0, s35
	s_mul_i32 s35, s33, s11
	s_mul_hi_u32 s38, s33, s10
	s_add_i32 s35, s38, s35
	s_mul_i32 s34, s34, s10
	s_add_i32 s35, s35, s34
	s_mul_i32 s33, s33, s10
	s_add_u32 s33, s36, s33
	s_addc_u32 s36, s37, s35
	s_lshl_b64 s[34:35], s[14:15], 4
	s_add_u32 s33, s33, s34
	s_addc_u32 s34, s36, s35
	s_add_u32 s33, s22, s33
	v_ashrrev_i32_e32 v11, 31, v10
	s_addc_u32 s34, s23, s34
	v_lshlrev_b64 v[2:3], 4, v[10:11]
	v_mov_b32_e32 v4, s34
	s_lshl_b64 s[34:35], s[10:11], 4
	v_add_co_u32_e32 v2, vcc, s33, v2
	s_sub_u32 s33, 0, s34
	s_subb_u32 s34, 0, s35
	v_addc_co_u32_e32 v3, vcc, v4, v3, vcc
	v_mov_b32_e32 v4, s34
.LBB30_11:                              ; =>This Inner Loop Header: Depth=1
	global_load_dwordx4 v[6:9], v[2:3], off
	s_add_i32 s26, s26, -1
	v_add_co_u32_e32 v2, vcc, s33, v2
	v_addc_co_u32_e32 v3, vcc, v3, v4, vcc
	s_cmp_gt_u32 s26, 1
	s_waitcnt vmcnt(0)
	ds_write2_b64 v1, v[6:7], v[8:9] offset1:1
	v_add_u32_e32 v1, s27, v1
	s_cbranch_scc1 .LBB30_11
; %bb.12:
	s_mov_b64 s[26:27], 0
.LBB30_13:
	s_and_b64 vcc, exec, s[26:27]
	s_cbranch_vccz .LBB30_16
; %bb.14:
	s_lshl_b64 s[26:27], s[14:15], 4
	s_add_u32 s33, s22, s26
	s_addc_u32 s34, s23, s27
	s_lshl_b64 s[26:27], s[6:7], 4
	s_add_u32 s33, s33, s26
	s_addc_u32 s34, s34, s27
	s_lshl_b64 s[26:27], s[16:17], 4
	v_add_u32_e32 v2, s28, v10
	s_add_u32 s26, s33, s26
	v_ashrrev_i32_e32 v3, 31, v2
	s_addc_u32 s27, s34, s27
	v_lshlrev_b64 v[2:3], 4, v[2:3]
	v_mov_b32_e32 v1, s27
	v_add_co_u32_e32 v2, vcc, s26, v2
	s_lshl_b64 s[26:27], s[10:11], 4
	v_addc_co_u32_e32 v3, vcc, v1, v3, vcc
	v_lshl_add_u32 v1, v10, 4, v12
	s_lshl_b32 s33, s28, 4
	v_mov_b32_e32 v4, s27
	s_mov_b32 s27, s28
.LBB30_15:                              ; =>This Inner Loop Header: Depth=1
	global_load_dwordx4 v[6:9], v[2:3], off
	s_add_i32 s27, s27, -1
	v_add_co_u32_e32 v2, vcc, s26, v2
	v_addc_co_u32_e32 v3, vcc, v3, v4, vcc
	s_cmp_eq_u32 s27, 0
	s_waitcnt vmcnt(0)
	ds_write2_b64 v1, v[6:7], v[8:9] offset1:1
	v_add_u32_e32 v1, s33, v1
	s_cbranch_scc0 .LBB30_15
.LBB30_16:
	s_or_b64 exec, exec, s[24:25]
.LBB30_17:
	s_andn2_saveexec_b64 s[18:19], s[18:19]
	s_cbranch_execz .LBB30_31
; %bb.18:
	v_pk_mov_b32 v[2:3], 0, 0
	s_and_saveexec_b64 s[24:25], s[0:1]
; %bb.19:
	s_add_u32 s26, s10, 1
	s_addc_u32 s27, s11, 0
	s_mul_i32 s27, s27, s28
	s_mul_hi_u32 s33, s26, s28
	s_add_i32 s27, s33, s27
	s_mul_i32 s26, s26, s28
	v_pk_mov_b32 v[2:3], s[26:27], s[26:27] op_sel:[0,1]
; %bb.20:
	s_or_b64 exec, exec, s[24:25]
	s_mov_b64 s[24:25], -1
	s_cmpk_lg_i32 s8, 0x7a
	v_lshlrev_b64 v[6:7], 4, v[2:3]
	s_cbranch_scc0 .LBB30_26
; %bb.21:
	s_add_i32 s26, s28, -1
	s_lshl_b32 s27, s28, 4
	s_lshl_b64 s[24:25], s[16:17], 4
	s_lshl_b64 s[34:35], s[6:7], 4
	s_add_u32 s33, s24, s34
	s_addc_u32 s34, s25, s35
	s_mul_i32 s24, s11, s26
	s_mul_hi_u32 s25, s10, s26
	s_add_i32 s25, s25, s24
	s_mul_i32 s24, s10, s26
	s_lshl_b64 s[24:25], s[24:25], 4
	s_add_u32 s33, s33, s24
	s_addc_u32 s34, s34, s25
	s_lshl_b64 s[24:25], s[14:15], 4
	s_add_u32 s24, s24, s33
	s_addc_u32 s25, s25, s34
	v_ashrrev_i32_e32 v11, 31, v10
	v_mov_b32_e32 v2, s25
	v_add_co_u32_e32 v4, vcc, s24, v6
	v_addc_co_u32_e32 v5, vcc, v2, v7, vcc
	v_lshlrev_b64 v[2:3], 4, v[10:11]
	v_add_co_u32_e32 v2, vcc, v4, v2
	v_addc_co_u32_e32 v3, vcc, v5, v3, vcc
	v_mov_b32_e32 v4, s23
	v_add_co_u32_e32 v2, vcc, s22, v2
	s_lshl_b64 s[24:25], s[10:11], 4
	v_addc_co_u32_e32 v3, vcc, v3, v4, vcc
	s_sub_u32 s33, 0, s24
	v_sub_u32_e32 v1, s26, v10
	v_add_co_u32_e32 v8, vcc, 8, v2
	s_subb_u32 s24, 0, s25
	v_lshl_add_u32 v1, v1, 4, v12
	v_addc_co_u32_e32 v9, vcc, 0, v3, vcc
	v_mov_b32_e32 v11, s24
	s_branch .LBB30_23
.LBB30_22:                              ;   in Loop: Header=BB30_23 Depth=1
	s_or_b64 exec, exec, s[24:25]
	s_add_i32 s26, s26, -1
	v_add_co_u32_e32 v8, vcc, s33, v8
	s_waitcnt vmcnt(0)
	ds_write_b128 v1, v[2:5]
	v_add_u32_e32 v1, s27, v1
	s_cmp_eq_u32 s26, -1
	v_addc_co_u32_e32 v9, vcc, v9, v11, vcc
	s_cbranch_scc1 .LBB30_25
.LBB30_23:                              ; =>This Inner Loop Header: Depth=1
	v_pk_mov_b32 v[2:3], 0, 0
	v_cmp_ge_i32_e32 vcc, s26, v10
	v_pk_mov_b32 v[4:5], v[2:3], v[2:3] op_sel:[0,1]
	s_and_saveexec_b64 s[24:25], vcc
	s_cbranch_execz .LBB30_22
; %bb.24:                               ;   in Loop: Header=BB30_23 Depth=1
	global_load_dwordx4 v[2:5], v[8:9], off offset:-8
	s_branch .LBB30_22
.LBB30_25:
	s_mov_b64 s[24:25], 0
.LBB30_26:
	s_and_b64 vcc, exec, s[24:25]
	s_cbranch_vccz .LBB30_31
; %bb.27:
	s_lshl_b32 s24, s28, 4
	s_lshl_b64 s[16:17], s[16:17], 4
	s_lshl_b64 s[6:7], s[6:7], 4
	s_add_u32 s16, s16, s6
	s_addc_u32 s17, s17, s7
	s_lshl_b64 s[6:7], s[14:15], 4
	s_add_u32 s6, s6, s16
	s_addc_u32 s7, s7, s17
	v_ashrrev_i32_e32 v11, 31, v10
	v_mov_b32_e32 v2, s7
	v_add_co_u32_e32 v4, vcc, s6, v6
	v_addc_co_u32_e32 v5, vcc, v2, v7, vcc
	v_lshlrev_b64 v[2:3], 4, v[10:11]
	v_add_co_u32_e32 v2, vcc, v4, v2
	v_addc_co_u32_e32 v3, vcc, v5, v3, vcc
	v_mov_b32_e32 v4, s23
	v_add_co_u32_e32 v2, vcc, s22, v2
	v_addc_co_u32_e32 v3, vcc, v3, v4, vcc
	v_add_co_u32_e32 v6, vcc, 8, v2
	s_lshl_b64 s[6:7], s[10:11], 4
	v_lshl_add_u32 v1, v10, 4, v12
	v_addc_co_u32_e32 v7, vcc, 0, v3, vcc
	s_mov_b32 s14, 0
	v_mov_b32_e32 v8, s7
	s_branch .LBB30_29
.LBB30_28:                              ;   in Loop: Header=BB30_29 Depth=1
	s_or_b64 exec, exec, s[10:11]
	s_add_i32 s14, s14, 1
	v_add_co_u32_e32 v6, vcc, s6, v6
	s_waitcnt vmcnt(0)
	ds_write_b128 v1, v[2:5]
	v_add_u32_e32 v1, s24, v1
	s_cmp_eq_u32 s28, s14
	v_addc_co_u32_e32 v7, vcc, v7, v8, vcc
	s_cbranch_scc1 .LBB30_31
.LBB30_29:                              ; =>This Inner Loop Header: Depth=1
	v_pk_mov_b32 v[2:3], 0, 0
	v_cmp_le_i32_e32 vcc, s14, v10
	v_pk_mov_b32 v[4:5], v[2:3], v[2:3] op_sel:[0,1]
	s_and_saveexec_b64 s[10:11], vcc
	s_cbranch_execz .LBB30_28
; %bb.30:                               ;   in Loop: Header=BB30_29 Depth=1
	global_load_dwordx4 v[2:5], v[6:7], off offset:-8
	s_branch .LBB30_28
.LBB30_31:
	s_or_b64 exec, exec, s[18:19]
	s_waitcnt lgkmcnt(0)
	s_barrier
	s_and_saveexec_b64 s[10:11], s[2:3]
	s_cbranch_execz .LBB30_42
; %bb.32:
	s_add_i32 s6, s28, 1
	v_mul_i32_i24_e32 v1, s6, v10
	s_cmpk_eq_i32 s9, 0x84
	v_lshl_add_u32 v1, v1, 4, v12
	s_cbranch_scc1 .LBB30_40
; %bb.33:
	ds_read_b128 v[2:5], v1
	v_mov_b32_e32 v6, 0
	v_pk_mov_b32 v[8:9], 0, 0
	v_mov_b32_e32 v7, 0x3ff00000
	s_waitcnt lgkmcnt(0)
	v_cmp_neq_f64_e32 vcc, 0, v[2:3]
	v_cmp_neq_f64_e64 s[6:7], 0, v[4:5]
	s_or_b64 s[14:15], vcc, s[6:7]
	s_and_saveexec_b64 s[6:7], s[14:15]
	s_cbranch_execz .LBB30_39
; %bb.34:
	v_xor_b32_e32 v6, 0x80000000, v3
	v_cmp_gt_f64_e32 vcc, 0, v[2:3]
	v_cndmask_b32_e32 v7, v3, v6, vcc
	v_cndmask_b32_e32 v6, v2, v2, vcc
	v_xor_b32_e32 v8, 0x80000000, v5
	v_cmp_gt_f64_e32 vcc, 0, v[4:5]
	v_cndmask_b32_e32 v9, v5, v8, vcc
	v_cndmask_b32_e32 v8, v4, v4, vcc
	v_cmp_ngt_f64_e32 vcc, v[6:7], v[8:9]
                                        ; implicit-def: $vgpr8_vgpr9
	s_and_saveexec_b64 s[14:15], vcc
	s_xor_b64 s[14:15], exec, s[14:15]
	s_cbranch_execz .LBB30_36
; %bb.35:
	v_div_scale_f64 v[6:7], s[16:17], v[4:5], v[4:5], v[2:3]
	v_rcp_f64_e32 v[8:9], v[6:7]
	v_div_scale_f64 v[14:15], vcc, v[2:3], v[4:5], v[2:3]
	v_fma_f64 v[16:17], -v[6:7], v[8:9], 1.0
	v_fmac_f64_e32 v[8:9], v[8:9], v[16:17]
	v_fma_f64 v[16:17], -v[6:7], v[8:9], 1.0
	v_fmac_f64_e32 v[8:9], v[8:9], v[16:17]
	v_mul_f64 v[16:17], v[14:15], v[8:9]
	v_fma_f64 v[6:7], -v[6:7], v[16:17], v[14:15]
	v_div_fmas_f64 v[6:7], v[6:7], v[8:9], v[16:17]
	v_div_fixup_f64 v[6:7], v[6:7], v[4:5], v[2:3]
	v_fmac_f64_e32 v[4:5], v[2:3], v[6:7]
	v_div_scale_f64 v[2:3], s[16:17], v[4:5], v[4:5], 1.0
	v_rcp_f64_e32 v[8:9], v[2:3]
	v_fma_f64 v[14:15], -v[2:3], v[8:9], 1.0
	v_fmac_f64_e32 v[8:9], v[8:9], v[14:15]
	v_fma_f64 v[14:15], -v[2:3], v[8:9], 1.0
	v_fmac_f64_e32 v[8:9], v[8:9], v[14:15]
	v_div_scale_f64 v[14:15], vcc, 1.0, v[4:5], 1.0
	v_mul_f64 v[16:17], v[14:15], v[8:9]
	v_fma_f64 v[2:3], -v[2:3], v[16:17], v[14:15]
	s_nop 1
	v_div_fmas_f64 v[2:3], v[2:3], v[8:9], v[16:17]
	v_div_fixup_f64 v[8:9], v[2:3], v[4:5], 1.0
	v_mul_f64 v[6:7], v[6:7], v[8:9]
	v_xor_b32_e32 v9, 0x80000000, v9
                                        ; implicit-def: $vgpr2_vgpr3
.LBB30_36:
	s_andn2_saveexec_b64 s[14:15], s[14:15]
	s_cbranch_execz .LBB30_38
; %bb.37:
	v_div_scale_f64 v[6:7], s[16:17], v[2:3], v[2:3], v[4:5]
	v_rcp_f64_e32 v[8:9], v[6:7]
	v_div_scale_f64 v[14:15], vcc, v[4:5], v[2:3], v[4:5]
	v_fma_f64 v[16:17], -v[6:7], v[8:9], 1.0
	v_fmac_f64_e32 v[8:9], v[8:9], v[16:17]
	v_fma_f64 v[16:17], -v[6:7], v[8:9], 1.0
	v_fmac_f64_e32 v[8:9], v[8:9], v[16:17]
	v_mul_f64 v[16:17], v[14:15], v[8:9]
	v_fma_f64 v[6:7], -v[6:7], v[16:17], v[14:15]
	v_div_fmas_f64 v[6:7], v[6:7], v[8:9], v[16:17]
	v_div_fixup_f64 v[8:9], v[6:7], v[2:3], v[4:5]
	v_fmac_f64_e32 v[2:3], v[4:5], v[8:9]
	v_div_scale_f64 v[4:5], s[16:17], v[2:3], v[2:3], 1.0
	v_rcp_f64_e32 v[6:7], v[4:5]
	v_fma_f64 v[14:15], -v[4:5], v[6:7], 1.0
	v_fmac_f64_e32 v[6:7], v[6:7], v[14:15]
	v_fma_f64 v[14:15], -v[4:5], v[6:7], 1.0
	v_fmac_f64_e32 v[6:7], v[6:7], v[14:15]
	v_div_scale_f64 v[14:15], vcc, 1.0, v[2:3], 1.0
	v_mul_f64 v[16:17], v[14:15], v[6:7]
	v_fma_f64 v[4:5], -v[4:5], v[16:17], v[14:15]
	s_nop 1
	v_div_fmas_f64 v[4:5], v[4:5], v[6:7], v[16:17]
	v_div_fixup_f64 v[6:7], v[4:5], v[2:3], 1.0
	v_mul_f64 v[8:9], v[8:9], -v[6:7]
.LBB30_38:
	s_or_b64 exec, exec, s[14:15]
.LBB30_39:
	s_or_b64 exec, exec, s[6:7]
	s_branch .LBB30_41
.LBB30_40:
	v_mov_b32_e32 v6, 0
	v_mov_b32_e32 v7, 0x3ff00000
	v_pk_mov_b32 v[8:9], 0, 0
.LBB30_41:
	ds_write_b128 v1, v[6:9]
.LBB30_42:
	s_or_b64 exec, exec, s[10:11]
	s_waitcnt lgkmcnt(0)
	s_barrier
	s_and_saveexec_b64 s[6:7], s[2:3]
	s_cbranch_execz .LBB30_54
; %bb.43:
	s_add_i32 s9, s28, 1
	v_lshlrev_b32_e32 v2, 4, v10
	v_mul_i32_i24_e32 v3, s9, v10
	s_lshl_b32 s9, s28, 4
	v_add_u32_e32 v1, v12, v2
	v_lshl_add_u32 v6, v3, 4, v12
	v_add_u32_e32 v7, 16, v12
	s_add_i32 s14, s9, 16
	v_add3_u32 v8, v2, s9, v12
	s_mov_b32 s15, 0
	s_branch .LBB30_45
.LBB30_44:                              ;   in Loop: Header=BB30_45 Depth=1
	v_add_u32_e32 v7, s14, v7
	s_cmp_eq_u32 s15, s28
	v_add_u32_e32 v8, s9, v8
	s_cbranch_scc1 .LBB30_54
.LBB30_45:                              ; =>This Loop Header: Depth=1
                                        ;     Child Loop BB30_50 Depth 2
	v_pk_mov_b32 v[2:3], 0, 0
	v_cmp_lt_i32_e32 vcc, s15, v10
	s_mul_i32 s16, s15, s28
	v_pk_mov_b32 v[4:5], v[2:3], v[2:3] op_sel:[0,1]
	s_and_saveexec_b64 s[10:11], vcc
	s_cbranch_execz .LBB30_47
; %bb.46:                               ;   in Loop: Header=BB30_45 Depth=1
	s_lshl_b32 s17, s16, 4
	s_lshl_b32 s18, s15, 4
	v_add_u32_e32 v9, s17, v1
	s_add_i32 s17, s17, s18
	v_add_u32_e32 v2, s17, v12
	ds_read_b128 v[2:5], v2
	ds_read_b128 v[14:17], v9
	s_waitcnt lgkmcnt(0)
	v_mul_f64 v[18:19], v[4:5], v[16:17]
	v_mul_f64 v[16:17], v[2:3], v[16:17]
	v_fma_f64 v[2:3], v[2:3], v[14:15], -v[18:19]
	v_fmac_f64_e32 v[16:17], v[4:5], v[14:15]
	v_add_f64 v[2:3], v[2:3], 0
	v_add_f64 v[4:5], v[16:17], 0
.LBB30_47:                              ;   in Loop: Header=BB30_45 Depth=1
	s_or_b64 exec, exec, s[10:11]
	s_add_i32 s15, s15, 1
	s_cmp_ge_u32 s15, s28
	s_cbranch_scc1 .LBB30_44
; %bb.48:                               ;   in Loop: Header=BB30_45 Depth=1
	v_lshl_add_u32 v9, s16, 4, v1
	v_mov_b32_e32 v11, v8
	v_mov_b32_e32 v13, v7
	s_mov_b32 s16, s15
	s_branch .LBB30_50
.LBB30_49:                              ;   in Loop: Header=BB30_50 Depth=2
	s_or_b64 exec, exec, s[10:11]
	s_add_i32 s16, s16, 1
	v_add_u32_e32 v13, 16, v13
	s_cmp_ge_u32 s16, s28
	v_add_u32_e32 v11, s9, v11
	s_cbranch_scc1 .LBB30_44
.LBB30_50:                              ;   Parent Loop BB30_45 Depth=1
                                        ; =>  This Inner Loop Header: Depth=2
	v_cmp_eq_u32_e32 vcc, s16, v10
	s_and_saveexec_b64 s[10:11], vcc
	s_cbranch_execz .LBB30_52
; %bb.51:                               ;   in Loop: Header=BB30_50 Depth=2
	ds_read_b128 v[14:17], v6
	v_add_f64 v[20:21], -v[2:3], 0
	s_waitcnt lgkmcnt(0)
	v_mul_f64 v[18:19], v[4:5], v[16:17]
	v_mul_f64 v[22:23], v[4:5], v[14:15]
	v_fmac_f64_e32 v[18:19], v[20:21], v[14:15]
	v_fma_f64 v[20:21], v[20:21], v[16:17], -v[22:23]
	ds_write_b128 v9, v[18:21]
.LBB30_52:                              ;   in Loop: Header=BB30_50 Depth=2
	s_or_b64 exec, exec, s[10:11]
	v_cmp_lt_i32_e32 vcc, s16, v10
	s_and_saveexec_b64 s[10:11], vcc
	s_cbranch_execz .LBB30_49
; %bb.53:                               ;   in Loop: Header=BB30_50 Depth=2
	ds_read_b128 v[14:17], v13
	ds_read_b128 v[18:21], v11
	s_waitcnt lgkmcnt(0)
	v_mul_f64 v[22:23], v[16:17], v[20:21]
	v_mul_f64 v[20:21], v[14:15], v[20:21]
	v_fma_f64 v[14:15], v[14:15], v[18:19], -v[22:23]
	v_fmac_f64_e32 v[20:21], v[16:17], v[18:19]
	v_add_f64 v[2:3], v[2:3], v[14:15]
	v_add_f64 v[4:5], v[4:5], v[20:21]
	s_branch .LBB30_49
.LBB30_54:
	s_or_b64 exec, exec, s[6:7]
	s_and_b32 s6, s28, 0xffff
	v_cvt_f32_u32_e32 v1, s6
	v_cvt_f32_ubyte0_e32 v2, v0
	s_cmpk_lg_i32 s8, 0x7a
	s_cselect_b64 s[8:9], -1, 0
	v_rcp_iflag_f32_e32 v3, v1
	s_mul_i32 s6, s28, s28
	v_cmp_gt_u32_e64 s[6:7], s6, v0
	s_waitcnt lgkmcnt(0)
	v_mul_f32_e32 v3, v2, v3
	v_trunc_f32_e32 v3, v3
	v_cvt_u32_f32_e32 v4, v3
	v_mad_f32 v2, -v3, v1, v2
	v_cmp_ge_f32_e64 vcc, |v2|, v1
	s_barrier
	v_addc_co_u32_e32 v1, vcc, 0, v4, vcc
	v_and_b32_e32 v9, 0xffff, v1
	v_mul_lo_u16_e32 v1, s28, v1
	v_sub_u16_e32 v8, v0, v1
	s_and_b64 vcc, exec, s[8:9]
	s_cbranch_vccz .LBB30_65
; %bb.55:
	s_mov_b64 s[10:11], 0
	s_mov_b64 s[16:17], 0
                                        ; implicit-def: $vgpr2_vgpr3
                                        ; implicit-def: $vgpr4
	s_and_saveexec_b64 s[14:15], s[6:7]
	s_cbranch_execz .LBB30_66
; %bb.56:
	v_pk_mov_b32 v[0:1], 0, 0
	v_add_u32_e32 v6, 1, v9
	v_cmp_lt_u16_e32 vcc, 6, v9
	v_mov_b32_e32 v4, 0
	v_lshlrev_b32_e32 v5, 8, v9
	v_pk_mov_b32 v[2:3], v[0:1], v[0:1] op_sel:[0,1]
	s_and_saveexec_b64 s[16:17], vcc
	s_cbranch_execz .LBB30_60
; %bb.57:
	v_pk_mov_b32 v[2:3], 0, 0
	v_and_b32_e32 v4, 0x7f8, v6
	v_lshlrev_b32_e32 v7, 4, v8
	v_sub_u32_e32 v11, 0x3f80, v5
	s_mov_b64 s[18:19], 0
	s_mov_b32 s22, 0
	v_pk_mov_b32 v[0:1], v[2:3], v[2:3] op_sel:[0,1]
.LBB30_58:                              ; =>This Inner Loop Header: Depth=1
	ds_read_b128 v[14:17], v11 offset:112
	ds_read_b128 v[18:21], v11 offset:96
	ds_read_b128 v[22:25], v7
	ds_read_b128 v[26:29], v7 offset:256
	ds_read_b128 v[30:33], v11 offset:80
	;; [unrolled: 1-line block ×5, first 2 shown]
	ds_read_b128 v[46:49], v11
	ds_read_b128 v[50:53], v11 offset:16
	ds_read_b128 v[54:57], v11 offset:32
	;; [unrolled: 1-line block ×7, first 2 shown]
	s_waitcnt lgkmcnt(13)
	v_mul_f64 v[78:79], v[16:17], v[24:25]
	v_mul_f64 v[24:25], v[14:15], v[24:25]
	s_waitcnt lgkmcnt(12)
	v_mul_f64 v[80:81], v[20:21], v[28:29]
	v_mul_f64 v[28:29], v[18:19], v[28:29]
	v_fma_f64 v[14:15], v[14:15], v[22:23], -v[78:79]
	v_fmac_f64_e32 v[24:25], v[16:17], v[22:23]
	s_waitcnt lgkmcnt(9)
	v_mul_f64 v[82:83], v[32:33], v[40:41]
	v_mul_f64 v[40:41], v[30:31], v[40:41]
	v_fma_f64 v[16:17], v[18:19], v[26:27], -v[80:81]
	v_fmac_f64_e32 v[28:29], v[20:21], v[26:27]
	v_add_f64 v[0:1], v[0:1], v[14:15]
	v_add_f64 v[2:3], v[2:3], v[24:25]
	s_waitcnt lgkmcnt(8)
	v_mul_f64 v[84:85], v[36:37], v[44:45]
	v_mul_f64 v[44:45], v[34:35], v[44:45]
	v_fma_f64 v[18:19], v[30:31], v[38:39], -v[82:83]
	v_fmac_f64_e32 v[40:41], v[32:33], v[38:39]
	v_add_f64 v[0:1], v[0:1], v[16:17]
	v_add_f64 v[2:3], v[2:3], v[28:29]
	;; [unrolled: 7-line block ×5, first 2 shown]
	s_add_i32 s22, s22, 8
	s_waitcnt lgkmcnt(0)
	v_mul_f64 v[92:93], v[48:49], v[76:77]
	v_mul_f64 v[76:77], v[46:47], v[76:77]
	v_fma_f64 v[30:31], v[50:51], v[70:71], -v[90:91]
	v_fmac_f64_e32 v[72:73], v[52:53], v[70:71]
	v_add_f64 v[0:1], v[0:1], v[26:27]
	v_add_f64 v[2:3], v[2:3], v[68:69]
	v_cmp_eq_u32_e32 vcc, s22, v4
	v_fma_f64 v[32:33], v[46:47], v[74:75], -v[92:93]
	v_fmac_f64_e32 v[76:77], v[48:49], v[74:75]
	v_add_f64 v[0:1], v[0:1], v[30:31]
	v_add_f64 v[2:3], v[2:3], v[72:73]
	v_add_u32_e32 v7, 0x800, v7
	v_add_u32_e32 v11, 0xffffff80, v11
	s_or_b64 s[18:19], vcc, s[18:19]
	v_add_f64 v[0:1], v[0:1], v[32:33]
	v_add_f64 v[2:3], v[2:3], v[76:77]
	s_andn2_b64 exec, exec, s[18:19]
	s_cbranch_execnz .LBB30_58
; %bb.59:
	s_or_b64 exec, exec, s[18:19]
.LBB30_60:
	s_or_b64 exec, exec, s[16:17]
	v_and_b32_e32 v6, 7, v6
	v_cmp_ne_u32_e32 vcc, 0, v6
	s_and_saveexec_b64 s[16:17], vcc
	s_cbranch_execz .LBB30_64
; %bb.61:
	v_lshl_add_u32 v5, v4, 4, v5
	v_lshlrev_b32_e32 v7, 4, v8
	v_sub_u32_e32 v5, 0x3ff0, v5
	v_lshl_add_u32 v4, v4, 8, v7
	s_mov_b64 s[18:19], 0
.LBB30_62:                              ; =>This Inner Loop Header: Depth=1
	ds_read_b128 v[14:17], v5
	ds_read_b128 v[18:21], v4
	v_add_u32_e32 v6, -1, v6
	v_cmp_eq_u32_e32 vcc, 0, v6
	v_add_u32_e32 v5, -16, v5
	v_add_u32_e32 v4, 0x100, v4
	s_waitcnt lgkmcnt(0)
	v_mul_f64 v[22:23], v[16:17], v[20:21]
	v_mul_f64 v[20:21], v[14:15], v[20:21]
	v_fma_f64 v[14:15], v[14:15], v[18:19], -v[22:23]
	v_fmac_f64_e32 v[20:21], v[16:17], v[18:19]
	s_or_b64 s[18:19], vcc, s[18:19]
	v_add_f64 v[0:1], v[0:1], v[14:15]
	v_add_f64 v[2:3], v[2:3], v[20:21]
	s_andn2_b64 exec, exec, s[18:19]
	s_cbranch_execnz .LBB30_62
; %bb.63:
	s_or_b64 exec, exec, s[18:19]
.LBB30_64:
	s_or_b64 exec, exec, s[16:17]
	s_mov_b64 s[16:17], exec
	v_lshlrev_b32_e32 v4, 4, v9
	s_or_b64 exec, exec, s[14:15]
	s_and_b64 vcc, exec, s[10:11]
	s_cbranch_vccnz .LBB30_67
	s_branch .LBB30_74
.LBB30_65:
	s_mov_b64 s[16:17], 0
                                        ; implicit-def: $vgpr2_vgpr3
                                        ; implicit-def: $vgpr4
	s_cbranch_execnz .LBB30_67
	s_branch .LBB30_74
.LBB30_66:
	s_or_b64 exec, exec, s[14:15]
	s_and_b64 vcc, exec, s[10:11]
	s_cbranch_vccz .LBB30_74
.LBB30_67:
                                        ; implicit-def: $vgpr2_vgpr3
                                        ; implicit-def: $vgpr4
	s_and_saveexec_b64 s[10:11], s[6:7]
	s_cbranch_execz .LBB30_73
; %bb.68:
	v_pk_mov_b32 v[2:3], 0, 0
	v_cmp_gt_u16_e32 vcc, 16, v9
	v_pk_mov_b32 v[0:1], v[2:3], v[2:3] op_sel:[0,1]
	s_and_saveexec_b64 s[14:15], vcc
	s_cbranch_execz .LBB30_72
; %bb.69:
	v_lshlrev_b32_e32 v0, 4, v8
	v_lshl_add_u32 v4, v9, 8, v0
	s_movk_i32 s18, 0x110
	v_mov_b32_e32 v0, 0x2000
	v_pk_mov_b32 v[2:3], 0, 0
	v_add_u32_e32 v5, -1, v9
	v_mad_u32_u24 v6, v9, s18, v0
	s_mov_b64 s[18:19], 0
	v_pk_mov_b32 v[0:1], v[2:3], v[2:3] op_sel:[0,1]
.LBB30_70:                              ; =>This Inner Loop Header: Depth=1
	ds_read_b128 v[14:17], v6
	ds_read_b128 v[18:21], v4
	v_add_u32_e32 v5, 1, v5
	v_cmp_lt_u32_e32 vcc, 14, v5
	v_add_u32_e32 v4, 0x100, v4
	v_add_u32_e32 v6, 16, v6
	s_waitcnt lgkmcnt(0)
	v_mul_f64 v[22:23], v[16:17], v[20:21]
	v_mul_f64 v[20:21], v[14:15], v[20:21]
	v_fma_f64 v[14:15], v[14:15], v[18:19], -v[22:23]
	v_fmac_f64_e32 v[20:21], v[16:17], v[18:19]
	s_or_b64 s[18:19], vcc, s[18:19]
	v_add_f64 v[0:1], v[0:1], v[14:15]
	v_add_f64 v[2:3], v[2:3], v[20:21]
	s_andn2_b64 exec, exec, s[18:19]
	s_cbranch_execnz .LBB30_70
; %bb.71:
	s_or_b64 exec, exec, s[18:19]
.LBB30_72:
	s_or_b64 exec, exec, s[14:15]
	v_lshlrev_b32_e32 v4, 4, v9
	s_or_b64 s[16:17], s[16:17], exec
.LBB30_73:
	s_or_b64 exec, exec, s[10:11]
.LBB30_74:
	s_and_saveexec_b64 s[10:11], s[16:17]
	s_cbranch_execz .LBB30_76
; %bb.75:
	v_add_lshl_u32 v4, v4, v8, 4
	ds_write_b128 v4, v[0:3] offset:4096
.LBB30_76:
	s_or_b64 exec, exec, s[10:11]
	s_load_dword s10, s[4:5], 0x48
	s_load_dwordx2 s[16:17], s[4:5], 0x58
	s_lshl_b64 s[4:5], s[20:21], 4
	s_waitcnt lgkmcnt(0)
	s_barrier
	s_ashr_i32 s11, s10, 31
	s_add_u32 s18, s12, s4
	s_addc_u32 s19, s13, s5
	s_lshl_b64 s[14:15], s[10:11], 5
	s_add_u32 s14, s14, 32
	s_addc_u32 s15, s15, 0
	s_mul_hi_u32 s20, s14, s31
	s_mul_i32 s15, s15, s31
	s_add_i32 s15, s20, s15
	s_mul_i32 s14, s14, s31
	s_lshl_b64 s[14:15], s[14:15], 4
	s_add_u32 s18, s18, s14
	s_mul_i32 s17, s30, s17
	s_mul_hi_u32 s20, s30, s16
	s_addc_u32 s19, s19, s15
	s_add_i32 s17, s20, s17
	s_mul_i32 s16, s30, s16
	s_lshl_b64 s[16:17], s[16:17], 4
	s_add_u32 s24, s18, s16
	s_addc_u32 s25, s19, s17
	s_and_b64 vcc, exec, s[8:9]
	s_cbranch_vccz .LBB30_82
; %bb.77:
	s_mov_b64 s[20:21], 0
	s_mov_b64 s[18:19], 0
                                        ; implicit-def: $vgpr0_vgpr1
                                        ; implicit-def: $vgpr4_vgpr5
	s_and_saveexec_b64 s[22:23], s[6:7]
	s_cbranch_execz .LBB30_81
; %bb.78:
	v_mad_u32_u24 v0, s28, v9, v8
	v_mov_b32_e32 v1, 0x1000
	v_lshl_add_u32 v6, v0, 4, v1
	v_sub_u32_e32 v0, s28, v8
	v_mul_i32_i24_e32 v0, s28, v0
	v_lshlrev_b32_e32 v0, 4, v0
	v_lshlrev_b32_e32 v4, 4, v8
	v_sub_u32_e32 v0, v0, v4
	s_lshl_b32 s18, s28, 4
	v_pk_mov_b32 v[2:3], 0, 0
	v_add_u32_e32 v5, -1, v8
	v_add_u32_e32 v7, 0x1ff0, v0
	s_sub_i32 s26, 0, s18
	s_mov_b64 s[18:19], 0
	v_pk_mov_b32 v[0:1], v[2:3], v[2:3] op_sel:[0,1]
.LBB30_79:                              ; =>This Inner Loop Header: Depth=1
	ds_read_b128 v[14:17], v7
	ds_read_b128 v[18:21], v6
	v_add_u32_e32 v5, 1, v5
	v_cmp_lt_u32_e32 vcc, 14, v5
	v_add_u32_e32 v6, 16, v6
	v_add_u32_e32 v7, s26, v7
	s_waitcnt lgkmcnt(0)
	v_mul_f64 v[22:23], v[14:15], v[18:19]
	v_mul_f64 v[14:15], v[14:15], v[20:21]
	v_fma_f64 v[20:21], v[16:17], v[20:21], -v[22:23]
	v_fma_f64 v[14:15], v[18:19], -v[16:17], -v[14:15]
	s_or_b64 s[18:19], vcc, s[18:19]
	v_add_f64 v[2:3], v[2:3], v[20:21]
	v_add_f64 v[0:1], v[0:1], v[14:15]
	s_andn2_b64 exec, exec, s[18:19]
	s_cbranch_execnz .LBB30_79
; %bb.80:
	s_or_b64 exec, exec, s[18:19]
	s_mul_hi_i32 s27, s28, s10
	s_mul_i32 s26, s28, s10
	s_lshl_b64 s[26:27], s[26:27], 4
	s_add_u32 s26, s24, s26
	s_addc_u32 s27, s25, s27
	v_mad_i64_i32 v[6:7], s[30:31], v9, s10, 0
	v_mov_b32_e32 v5, s27
	v_add_co_u32_e32 v11, vcc, s26, v4
	v_addc_co_u32_e32 v13, vcc, 0, v5, vcc
	v_lshlrev_b64 v[4:5], 4, v[6:7]
	v_add_co_u32_e32 v4, vcc, v11, v4
	s_mov_b64 s[18:19], exec
	v_addc_co_u32_e32 v5, vcc, v13, v5, vcc
	global_store_dwordx2 v[4:5], v[2:3], off
.LBB30_81:
	s_or_b64 exec, exec, s[22:23]
	s_and_b64 vcc, exec, s[20:21]
	s_cbranch_vccnz .LBB30_83
	s_branch .LBB30_94
.LBB30_82:
	s_mov_b64 s[18:19], 0
                                        ; implicit-def: $vgpr0_vgpr1
                                        ; implicit-def: $vgpr4_vgpr5
	s_cbranch_execz .LBB30_94
.LBB30_83:
                                        ; implicit-def: $vgpr0_vgpr1
                                        ; implicit-def: $vgpr4_vgpr5
	s_and_saveexec_b64 s[20:21], s[6:7]
	s_cbranch_execz .LBB30_93
; %bb.84:
	v_pk_mov_b32 v[0:1], 0, 0
	v_mul_u32_u24_e32 v5, s28, v9
	v_add_u32_e32 v13, 1, v8
	v_cmp_lt_u16_e32 vcc, 6, v8
	v_mov_b32_e32 v11, 0
	v_pk_mov_b32 v[2:3], v[0:1], v[0:1] op_sel:[0,1]
	s_and_saveexec_b64 s[6:7], vcc
	s_cbranch_execz .LBB30_88
; %bb.85:
	v_mov_b32_e32 v0, 0x1000
	v_lshl_add_u32 v14, v5, 4, v0
	v_mov_b32_e32 v0, 0x3000
	v_lshl_add_u32 v4, v8, 4, v0
	v_mad_u64_u32 v[6:7], s[22:23], s28, 48, v[4:5]
	s_mul_i32 s22, s28, 0x50
	v_add_u32_e32 v17, s22, v4
	s_mul_i32 s22, s28, 0x60
	v_add_u32_e32 v18, s22, v4
	s_mul_i32 s22, s28, 0x70
	v_pk_mov_b32 v[2:3], 0, 0
	v_and_b32_e32 v11, 56, v13
	v_lshl_add_u32 v15, s28, 4, v4
	s_lshl_b32 s26, s28, 7
	v_lshl_add_u32 v16, s28, 5, v4
	v_lshl_add_u32 v7, s28, 6, v4
	v_add_u32_e32 v19, s22, v4
	s_mov_b64 s[22:23], 0
	s_mov_b32 s27, 0
	v_pk_mov_b32 v[0:1], v[2:3], v[2:3] op_sel:[0,1]
.LBB30_86:                              ; =>This Inner Loop Header: Depth=1
	ds_read_b128 v[20:23], v14
	ds_read_b128 v[24:27], v14 offset:16
	ds_read_b128 v[28:31], v14 offset:32
	;; [unrolled: 1-line block ×3, first 2 shown]
	ds_read_b128 v[36:39], v15
	ds_read_b128 v[40:43], v16
	;; [unrolled: 1-line block ×6, first 2 shown]
	ds_read_b128 v[60:63], v14 offset:64
	ds_read_b128 v[64:67], v14 offset:80
	ds_read_b128 v[68:71], v18
	ds_read_b128 v[72:75], v19
	ds_read_b128 v[76:79], v14 offset:96
	ds_read_b128 v[80:83], v14 offset:112
	s_waitcnt lgkmcnt(9)
	v_mul_f64 v[84:85], v[44:45], v[20:21]
	v_mul_f64 v[44:45], v[44:45], v[22:23]
	;; [unrolled: 1-line block ×4, first 2 shown]
	v_fma_f64 v[22:23], v[46:47], v[22:23], -v[84:85]
	v_fma_f64 v[20:21], v[20:21], -v[46:47], -v[44:45]
	v_mul_f64 v[88:89], v[40:41], v[28:29]
	v_mul_f64 v[40:41], v[40:41], v[30:31]
	v_fma_f64 v[26:27], v[38:39], v[26:27], -v[86:87]
	v_fma_f64 v[24:25], v[24:25], -v[38:39], -v[36:37]
	v_add_f64 v[2:3], v[2:3], v[22:23]
	v_add_f64 v[0:1], v[0:1], v[20:21]
	s_waitcnt lgkmcnt(8)
	v_mul_f64 v[90:91], v[48:49], v[32:33]
	v_mul_f64 v[48:49], v[48:49], v[34:35]
	v_fma_f64 v[30:31], v[42:43], v[30:31], -v[88:89]
	v_fma_f64 v[28:29], v[28:29], -v[42:43], -v[40:41]
	v_add_f64 v[2:3], v[2:3], v[26:27]
	v_add_f64 v[0:1], v[0:1], v[24:25]
	s_waitcnt lgkmcnt(5)
	;; [unrolled: 7-line block ×4, first 2 shown]
	v_mul_f64 v[96:97], v[68:69], v[76:77]
	v_mul_f64 v[68:69], v[68:69], v[78:79]
	v_fma_f64 v[40:41], v[58:59], v[66:67], -v[94:95]
	v_fma_f64 v[42:43], v[64:65], -v[58:59], -v[56:57]
	v_add_f64 v[2:3], v[2:3], v[36:37]
	v_add_f64 v[0:1], v[0:1], v[38:39]
	s_add_i32 s27, s27, 8
	s_waitcnt lgkmcnt(0)
	v_mul_f64 v[98:99], v[72:73], v[80:81]
	v_mul_f64 v[72:73], v[72:73], v[82:83]
	v_fma_f64 v[44:45], v[70:71], v[78:79], -v[96:97]
	v_fma_f64 v[46:47], v[76:77], -v[70:71], -v[68:69]
	v_add_f64 v[2:3], v[2:3], v[40:41]
	v_add_f64 v[0:1], v[0:1], v[42:43]
	v_cmp_eq_u32_e32 vcc, s27, v11
	v_fma_f64 v[48:49], v[74:75], v[82:83], -v[98:99]
	v_fma_f64 v[50:51], v[80:81], -v[74:75], -v[72:73]
	v_add_f64 v[2:3], v[2:3], v[44:45]
	v_add_f64 v[0:1], v[0:1], v[46:47]
	v_add_u32_e32 v14, 0x80, v14
	v_add_u32_e32 v15, s26, v15
	;; [unrolled: 1-line block ×9, first 2 shown]
	s_or_b64 s[22:23], vcc, s[22:23]
	v_add_f64 v[2:3], v[2:3], v[48:49]
	v_add_f64 v[0:1], v[0:1], v[50:51]
	s_andn2_b64 exec, exec, s[22:23]
	s_cbranch_execnz .LBB30_86
; %bb.87:
	s_or_b64 exec, exec, s[22:23]
.LBB30_88:
	s_or_b64 exec, exec, s[6:7]
	v_and_b32_e32 v4, 7, v13
	v_cmp_ne_u32_e32 vcc, 0, v4
	s_and_saveexec_b64 s[6:7], vcc
	s_cbranch_execz .LBB30_92
; %bb.89:
	v_add_u32_e32 v5, v5, v11
	v_mov_b32_e32 v6, 0x1000
	v_lshl_add_u32 v5, v5, 4, v6
	v_mad_u32_u24 v6, v11, s28, v8
	v_mov_b32_e32 v7, 0x3000
	v_lshl_add_u32 v6, v6, 4, v7
	s_lshl_b32 s26, s28, 4
	s_mov_b64 s[22:23], 0
.LBB30_90:                              ; =>This Inner Loop Header: Depth=1
	ds_read_b128 v[14:17], v6
	ds_read_b128 v[18:21], v5
	v_add_u32_e32 v4, -1, v4
	v_cmp_eq_u32_e32 vcc, 0, v4
	v_add_u32_e32 v5, 16, v5
	v_add_u32_e32 v6, s26, v6
	s_waitcnt lgkmcnt(0)
	v_mul_f64 v[22:23], v[14:15], v[18:19]
	v_mul_f64 v[14:15], v[14:15], v[20:21]
	v_fma_f64 v[20:21], v[16:17], v[20:21], -v[22:23]
	v_fma_f64 v[14:15], v[18:19], -v[16:17], -v[14:15]
	s_or_b64 s[22:23], vcc, s[22:23]
	v_add_f64 v[2:3], v[2:3], v[20:21]
	v_add_f64 v[0:1], v[0:1], v[14:15]
	s_andn2_b64 exec, exec, s[22:23]
	s_cbranch_execnz .LBB30_90
; %bb.91:
	s_or_b64 exec, exec, s[22:23]
.LBB30_92:
	s_or_b64 exec, exec, s[6:7]
	v_mad_i64_i32 v[4:5], s[6:7], v9, s10, 0
	v_lshlrev_b64 v[4:5], 4, v[4:5]
	v_mov_b32_e32 v6, s25
	v_add_co_u32_e32 v4, vcc, s24, v4
	v_addc_co_u32_e32 v5, vcc, v6, v5, vcc
	v_add_lshl_u32 v6, s28, v8, 4
	v_add_co_u32_e32 v4, vcc, v4, v6
	v_addc_co_u32_e32 v5, vcc, 0, v5, vcc
	global_store_dwordx2 v[4:5], v[2:3], off
	s_or_b64 s[18:19], s[18:19], exec
.LBB30_93:
	s_or_b64 exec, exec, s[20:21]
.LBB30_94:
	s_and_saveexec_b64 s[6:7], s[18:19]
	s_cbranch_execnz .LBB30_96
; %bb.95:
	s_or_b64 exec, exec, s[6:7]
	s_and_saveexec_b64 s[6:7], s[2:3]
	s_cbranch_execnz .LBB30_97
	s_branch .LBB30_108
.LBB30_96:
	global_store_dwordx2 v[4:5], v[0:1], off offset:8
	s_or_b64 exec, exec, s[6:7]
	s_and_saveexec_b64 s[6:7], s[2:3]
	s_cbranch_execz .LBB30_108
.LBB30_97:
	v_pk_mov_b32 v[0:1], 0, 0
	s_and_saveexec_b64 s[2:3], s[0:1]
	s_cbranch_execnz .LBB30_100
; %bb.98:
	s_or_b64 exec, exec, s[2:3]
	s_mov_b64 s[0:1], -1
	s_and_b64 vcc, exec, s[8:9]
	s_cbranch_vccnz .LBB30_101
.LBB30_99:
	s_andn2_b64 vcc, exec, s[0:1]
	s_cbranch_vccz .LBB30_105
	s_branch .LBB30_108
.LBB30_100:
	s_add_u32 s0, s10, 1
	s_addc_u32 s1, s11, 0
	s_mul_i32 s1, s1, s28
	s_mul_hi_u32 s6, s0, s28
	s_add_i32 s1, s6, s1
	s_mul_i32 s0, s0, s28
	v_pk_mov_b32 v[0:1], s[0:1], s[0:1] op_sel:[0,1]
	s_or_b64 exec, exec, s[2:3]
	s_mov_b64 s[0:1], -1
	s_and_b64 vcc, exec, s[8:9]
	s_cbranch_vccz .LBB30_99
.LBB30_101:
	v_cmp_gt_i32_e32 vcc, s28, v10
	s_and_saveexec_b64 s[0:1], vcc
	s_cbranch_execz .LBB30_104
; %bb.102:
	s_cmp_lt_u32 s29, 16
	s_cselect_b32 s3, s29, 16
	s_cselect_b32 s2, 0, 0
	s_add_u32 s6, s3, -1
	s_addc_u32 s2, s2, -1
	s_mul_i32 s3, s6, s11
	s_mul_hi_u32 s7, s6, s10
	s_add_i32 s3, s7, s3
	s_mul_i32 s2, s2, s10
	s_add_i32 s3, s3, s2
	s_mul_i32 s2, s6, s10
	s_lshl_b64 s[2:3], s[2:3], 4
	s_add_u32 s2, s2, s16
	s_addc_u32 s3, s3, s17
	s_add_u32 s2, s2, s14
	s_addc_u32 s3, s3, s15
	v_xad_u32 v2, v10, -1, s28
	s_add_u32 s2, s4, s2
	v_lshl_add_u32 v4, v2, 4, v12
	v_lshlrev_b64 v[2:3], 4, v[0:1]
	s_addc_u32 s3, s5, s3
	v_ashrrev_i32_e32 v11, 31, v10
	v_mov_b32_e32 v5, s3
	v_add_co_u32_e32 v6, vcc, s2, v2
	v_addc_co_u32_e32 v5, vcc, v5, v3, vcc
	v_lshlrev_b64 v[2:3], 4, v[10:11]
	v_add_co_u32_e32 v2, vcc, v6, v2
	s_lshl_b64 s[4:5], s[10:11], 4
	v_addc_co_u32_e32 v3, vcc, v5, v3, vcc
	s_sub_u32 s4, 0, s4
	v_mov_b32_e32 v5, s13
	v_add_co_u32_e32 v2, vcc, s12, v2
	s_subb_u32 s6, 0, s5
	v_addc_co_u32_e32 v3, vcc, v5, v3, vcc
	s_mov_b64 s[2:3], 0
	s_lshl_b32 s5, s28, 4
	v_mov_b32_e32 v5, s6
	s_mov_b32 s6, s28
.LBB30_103:                             ; =>This Inner Loop Header: Depth=1
	ds_read2_b64 v[6:9], v4 offset1:1
	s_add_i32 s6, s6, -1
	v_cmp_le_i32_e32 vcc, s6, v10
	s_or_b64 s[2:3], vcc, s[2:3]
	v_add_u32_e32 v4, s5, v4
	s_waitcnt lgkmcnt(0)
	global_store_dwordx4 v[2:3], v[6:9], off
	v_add_co_u32_e32 v2, vcc, s4, v2
	v_addc_co_u32_e32 v3, vcc, v3, v5, vcc
	s_andn2_b64 exec, exec, s[2:3]
	s_cbranch_execnz .LBB30_103
.LBB30_104:
	s_or_b64 exec, exec, s[0:1]
	s_cbranch_execnz .LBB30_108
.LBB30_105:
	v_cmp_lt_i32_e32 vcc, -1, v10
	s_and_b64 exec, exec, vcc
	s_cbranch_execz .LBB30_108
; %bb.106:
	v_lshlrev_b64 v[0:1], 4, v[0:1]
	v_mov_b32_e32 v11, 0
	v_mov_b32_e32 v3, s25
	v_add_co_u32_e32 v4, vcc, s24, v0
	v_addc_co_u32_e32 v3, vcc, v3, v1, vcc
	v_lshlrev_b64 v[0:1], 4, v[10:11]
	v_add_co_u32_e32 v0, vcc, v4, v0
	s_lshl_b64 s[0:1], s[10:11], 4
	v_lshl_add_u32 v2, v10, 4, v12
	v_addc_co_u32_e32 v1, vcc, v3, v1, vcc
	v_add_u32_e32 v3, 1, v10
	s_lshl_b32 s4, s28, 4
	s_mov_b64 s[2:3], 0
	v_mov_b32_e32 v4, s1
.LBB30_107:                             ; =>This Inner Loop Header: Depth=1
	ds_read2_b64 v[6:9], v2 offset1:1
	v_add_u32_e32 v3, -1, v3
	v_cmp_eq_u32_e32 vcc, 0, v3
	s_or_b64 s[2:3], vcc, s[2:3]
	v_add_u32_e32 v2, s4, v2
	s_waitcnt lgkmcnt(0)
	global_store_dwordx4 v[0:1], v[6:9], off
	v_add_co_u32_e32 v0, vcc, s0, v0
	v_addc_co_u32_e32 v1, vcc, v1, v4, vcc
	s_andn2_b64 exec, exec, s[2:3]
	s_cbranch_execnz .LBB30_107
.LBB30_108:
	s_endpgm
	.section	.rodata,"a",@progbits
	.p2align	6, 0x0
	.amdhsa_kernel _ZL29rocblas_trtri_diagonal_kernelILi16E19rocblas_complex_numIdEPKPKS1_PKPS1_Ev13rocblas_fill_17rocblas_diagonal_iT1_lillT2_lilli
		.amdhsa_group_segment_fixed_size 16384
		.amdhsa_private_segment_fixed_size 0
		.amdhsa_kernarg_size 100
		.amdhsa_user_sgpr_count 6
		.amdhsa_user_sgpr_private_segment_buffer 1
		.amdhsa_user_sgpr_dispatch_ptr 0
		.amdhsa_user_sgpr_queue_ptr 0
		.amdhsa_user_sgpr_kernarg_segment_ptr 1
		.amdhsa_user_sgpr_dispatch_id 0
		.amdhsa_user_sgpr_flat_scratch_init 0
		.amdhsa_user_sgpr_kernarg_preload_length 0
		.amdhsa_user_sgpr_kernarg_preload_offset 0
		.amdhsa_user_sgpr_private_segment_size 0
		.amdhsa_uses_dynamic_stack 0
		.amdhsa_system_sgpr_private_segment_wavefront_offset 0
		.amdhsa_system_sgpr_workgroup_id_x 1
		.amdhsa_system_sgpr_workgroup_id_y 0
		.amdhsa_system_sgpr_workgroup_id_z 1
		.amdhsa_system_sgpr_workgroup_info 0
		.amdhsa_system_vgpr_workitem_id 0
		.amdhsa_next_free_vgpr 100
		.amdhsa_next_free_sgpr 40
		.amdhsa_accum_offset 100
		.amdhsa_reserve_vcc 1
		.amdhsa_reserve_flat_scratch 0
		.amdhsa_float_round_mode_32 0
		.amdhsa_float_round_mode_16_64 0
		.amdhsa_float_denorm_mode_32 3
		.amdhsa_float_denorm_mode_16_64 3
		.amdhsa_dx10_clamp 1
		.amdhsa_ieee_mode 1
		.amdhsa_fp16_overflow 0
		.amdhsa_tg_split 0
		.amdhsa_exception_fp_ieee_invalid_op 0
		.amdhsa_exception_fp_denorm_src 0
		.amdhsa_exception_fp_ieee_div_zero 0
		.amdhsa_exception_fp_ieee_overflow 0
		.amdhsa_exception_fp_ieee_underflow 0
		.amdhsa_exception_fp_ieee_inexact 0
		.amdhsa_exception_int_div_zero 0
	.end_amdhsa_kernel
	.section	.text._ZL29rocblas_trtri_diagonal_kernelILi16E19rocblas_complex_numIdEPKPKS1_PKPS1_Ev13rocblas_fill_17rocblas_diagonal_iT1_lillT2_lilli,"axG",@progbits,_ZL29rocblas_trtri_diagonal_kernelILi16E19rocblas_complex_numIdEPKPKS1_PKPS1_Ev13rocblas_fill_17rocblas_diagonal_iT1_lillT2_lilli,comdat
.Lfunc_end30:
	.size	_ZL29rocblas_trtri_diagonal_kernelILi16E19rocblas_complex_numIdEPKPKS1_PKPS1_Ev13rocblas_fill_17rocblas_diagonal_iT1_lillT2_lilli, .Lfunc_end30-_ZL29rocblas_trtri_diagonal_kernelILi16E19rocblas_complex_numIdEPKPKS1_PKPS1_Ev13rocblas_fill_17rocblas_diagonal_iT1_lillT2_lilli
                                        ; -- End function
	.section	.AMDGPU.csdata,"",@progbits
; Kernel info:
; codeLenInByte = 5376
; NumSgprs: 44
; NumVgprs: 100
; NumAgprs: 0
; TotalNumVgprs: 100
; ScratchSize: 0
; MemoryBound: 1
; FloatMode: 240
; IeeeMode: 1
; LDSByteSize: 16384 bytes/workgroup (compile time only)
; SGPRBlocks: 5
; VGPRBlocks: 12
; NumSGPRsForWavesPerEU: 44
; NumVGPRsForWavesPerEU: 100
; AccumOffset: 100
; Occupancy: 4
; WaveLimiterHint : 1
; COMPUTE_PGM_RSRC2:SCRATCH_EN: 0
; COMPUTE_PGM_RSRC2:USER_SGPR: 6
; COMPUTE_PGM_RSRC2:TRAP_HANDLER: 0
; COMPUTE_PGM_RSRC2:TGID_X_EN: 1
; COMPUTE_PGM_RSRC2:TGID_Y_EN: 0
; COMPUTE_PGM_RSRC2:TGID_Z_EN: 1
; COMPUTE_PGM_RSRC2:TIDIG_COMP_CNT: 0
; COMPUTE_PGM_RSRC3_GFX90A:ACCUM_OFFSET: 24
; COMPUTE_PGM_RSRC3_GFX90A:TG_SPLIT: 0
	.section	.text._ZL30rocblas_trtri_remainder_kernelILi16E19rocblas_complex_numIdEPKPKS1_PKPS1_Ev13rocblas_fill_17rocblas_diagonal_iT1_lillT2_lilli,"axG",@progbits,_ZL30rocblas_trtri_remainder_kernelILi16E19rocblas_complex_numIdEPKPKS1_PKPS1_Ev13rocblas_fill_17rocblas_diagonal_iT1_lillT2_lilli,comdat
	.globl	_ZL30rocblas_trtri_remainder_kernelILi16E19rocblas_complex_numIdEPKPKS1_PKPS1_Ev13rocblas_fill_17rocblas_diagonal_iT1_lillT2_lilli ; -- Begin function _ZL30rocblas_trtri_remainder_kernelILi16E19rocblas_complex_numIdEPKPKS1_PKPS1_Ev13rocblas_fill_17rocblas_diagonal_iT1_lillT2_lilli
	.p2align	8
	.type	_ZL30rocblas_trtri_remainder_kernelILi16E19rocblas_complex_numIdEPKPKS1_PKPS1_Ev13rocblas_fill_17rocblas_diagonal_iT1_lillT2_lilli,@function
_ZL30rocblas_trtri_remainder_kernelILi16E19rocblas_complex_numIdEPKPKS1_PKPS1_Ev13rocblas_fill_17rocblas_diagonal_iT1_lillT2_lilli: ; @_ZL30rocblas_trtri_remainder_kernelILi16E19rocblas_complex_numIdEPKPKS1_PKPS1_Ev13rocblas_fill_17rocblas_diagonal_iT1_lillT2_lilli
; %bb.0:
	s_load_dwordx4 s[8:11], s[4:5], 0x0
	s_waitcnt lgkmcnt(0)
	s_cmp_lt_i32 s10, 1
	s_cbranch_scc1 .LBB31_51
; %bb.1:
	s_load_dwordx4 s[16:19], s[4:5], 0x30
	s_load_dwordx2 s[20:21], s[4:5], 0x40
	s_mov_b32 s0, s7
	s_mov_b32 s1, 0
	s_lshl_b64 s[26:27], s[0:1], 3
	s_waitcnt lgkmcnt(0)
	s_add_u32 s0, s18, s26
	s_addc_u32 s1, s19, s27
	s_load_dwordx2 s[18:19], s[0:1], 0x0
	v_cmp_le_u32_e64 s[2:3], s10, v0
	v_cmp_gt_u32_e64 s[0:1], s10, v0
	s_and_saveexec_b64 s[22:23], s[0:1]
	s_cbranch_execz .LBB31_14
; %bb.2:
	s_load_dwordx4 s[12:15], s[4:5], 0x10
	s_load_dword s24, s[4:5], 0x20
	s_mul_i32 s7, s6, s17
	s_mul_hi_u32 s11, s6, s16
	s_mul_i32 s16, s6, s16
	s_waitcnt lgkmcnt(0)
	s_add_u32 s12, s12, s26
	s_addc_u32 s13, s13, s27
	s_load_dwordx2 s[12:13], s[12:13], 0x0
	s_add_i32 s17, s11, s7
	s_cmpk_lg_i32 s8, 0x7a
	s_mov_b64 s[26:27], -1
	s_cbranch_scc0 .LBB31_6
; %bb.3:
	s_ashr_i32 s25, s24, 31
	s_lshl_b32 s7, s10, 4
	s_ashr_i32 s11, s10, 31
	s_add_u32 s26, s10, -1
	s_addc_u32 s11, s11, -1
	s_mul_i32 s27, s26, s25
	s_mul_hi_u32 s28, s26, s24
	s_add_i32 s27, s28, s27
	s_mul_i32 s11, s11, s24
	s_add_i32 s27, s27, s11
	s_mul_i32 s26, s26, s24
	s_lshl_b64 s[26:27], s[26:27], 4
	s_lshl_b64 s[28:29], s[16:17], 4
	s_add_u32 s11, s26, s28
	s_addc_u32 s28, s27, s29
	s_lshl_b64 s[26:27], s[14:15], 4
	s_add_u32 s11, s11, s26
	s_addc_u32 s26, s28, s27
	s_waitcnt lgkmcnt(0)
	s_add_u32 s11, s12, s11
	v_lshlrev_b32_e32 v2, 4, v0
	s_addc_u32 s26, s13, s26
	s_lshl_b64 s[28:29], s[24:25], 4
	v_sub_u32_e32 v1, s7, v2
	v_add_co_u32_e32 v2, vcc, s11, v2
	s_sub_u32 s11, 0, s28
	v_mov_b32_e32 v3, s26
	s_subb_u32 s25, 0, s29
	v_add_u32_e32 v1, -16, v1
	v_addc_co_u32_e32 v3, vcc, 0, v3, vcc
	s_mov_b64 s[26:27], 0
	v_mov_b32_e32 v4, s25
	s_mov_b32 s25, s10
.LBB31_4:                               ; =>This Inner Loop Header: Depth=1
	global_load_dwordx4 v[6:9], v[2:3], off
	v_add_co_u32_e32 v2, vcc, s11, v2
	s_add_i32 s25, s25, -1
	v_addc_co_u32_e32 v3, vcc, v3, v4, vcc
	v_cmp_le_i32_e32 vcc, s25, v0
	s_or_b64 s[26:27], vcc, s[26:27]
	s_waitcnt vmcnt(0)
	ds_write2_b64 v1, v[6:7], v[8:9] offset1:1
	v_add_u32_e32 v1, s7, v1
	s_andn2_b64 exec, exec, s[26:27]
	s_cbranch_execnz .LBB31_4
; %bb.5:
	s_or_b64 exec, exec, s[26:27]
	s_mov_b64 s[26:27], 0
.LBB31_6:
	s_and_b64 vcc, exec, s[26:27]
	s_cbranch_vccz .LBB31_14
; %bb.7:
	v_mov_b32_e32 v1, 0
	s_ashr_i32 s25, s24, 31
	v_add_u32_e32 v4, 1, v0
	v_cmp_lt_u32_e32 vcc, 2, v0
	s_and_saveexec_b64 s[26:27], vcc
	s_cbranch_execz .LBB31_11
; %bb.8:
	s_lshl_b64 s[28:29], s[14:15], 4
	s_waitcnt lgkmcnt(0)
	s_add_u32 s7, s12, s28
	s_addc_u32 s11, s13, s29
	s_lshl_b64 s[28:29], s[16:17], 4
	s_add_u32 s7, s7, s28
	s_addc_u32 s11, s11, s29
	v_lshlrev_b32_e32 v5, 4, v0
	v_mov_b32_e32 v1, s11
	v_add_co_u32_e32 v2, vcc, s7, v5
	s_mul_hi_i32 s41, s24, 48
	s_lshl_b64 s[28:29], s[24:25], 6
	s_lshl_b64 s[30:31], s[24:25], 5
	;; [unrolled: 1-line block ×3, first 2 shown]
	v_addc_co_u32_e32 v3, vcc, 0, v1, vcc
	v_and_b32_e32 v1, 0x7fc, v4
	s_mul_i32 s7, s24, 48
	s_lshl_b32 s11, s10, 4
	s_lshl_b32 s33, s10, 6
	;; [unrolled: 1-line block ×3, first 2 shown]
	s_mul_i32 s39, s10, 48
	s_mov_b32 s40, 0
	s_mov_b64 s[36:37], 0
	v_mov_b32_e32 v6, s35
	v_mov_b32_e32 v7, s31
	;; [unrolled: 1-line block ×4, first 2 shown]
.LBB31_9:                               ; =>This Inner Loop Header: Depth=1
	v_add_co_u32_e32 v26, vcc, s34, v2
	v_addc_co_u32_e32 v27, vcc, v3, v6, vcc
	v_add_co_u32_e32 v28, vcc, s30, v2
	v_addc_co_u32_e32 v29, vcc, v3, v7, vcc
	global_load_dwordx4 v[10:13], v[2:3], off
	v_add_co_u32_e32 v30, vcc, s7, v2
	v_addc_co_u32_e32 v31, vcc, v3, v8, vcc
	global_load_dwordx4 v[14:17], v[26:27], off
	global_load_dwordx4 v[18:21], v[28:29], off
	;; [unrolled: 1-line block ×3, first 2 shown]
	v_add_co_u32_e32 v2, vcc, s28, v2
	s_add_i32 s40, s40, 4
	v_addc_co_u32_e32 v3, vcc, v3, v9, vcc
	v_cmp_eq_u32_e32 vcc, s40, v1
	v_add_u32_e32 v26, s11, v5
	v_add_u32_e32 v27, s38, v5
	;; [unrolled: 1-line block ×3, first 2 shown]
	s_or_b64 s[36:37], vcc, s[36:37]
	s_waitcnt vmcnt(3)
	ds_write2_b64 v5, v[10:11], v[12:13] offset1:1
	v_add_u32_e32 v5, s33, v5
	s_waitcnt vmcnt(2)
	ds_write2_b64 v26, v[14:15], v[16:17] offset1:1
	s_waitcnt vmcnt(1)
	ds_write2_b64 v27, v[18:19], v[20:21] offset1:1
	;; [unrolled: 2-line block ×3, first 2 shown]
	s_andn2_b64 exec, exec, s[36:37]
	s_cbranch_execnz .LBB31_9
; %bb.10:
	s_or_b64 exec, exec, s[36:37]
.LBB31_11:
	s_or_b64 exec, exec, s[26:27]
	v_and_b32_e32 v4, 3, v4
	v_cmp_ne_u32_e32 vcc, 0, v4
	s_and_b64 exec, exec, vcc
	s_cbranch_execz .LBB31_14
; %bb.12:
	v_mul_lo_u32 v2, v1, s10
	s_lshl_b32 s7, s10, 4
	s_lshl_b64 s[16:17], s[16:17], 4
	s_lshl_b64 s[14:15], s[14:15], 4
	v_add_lshl_u32 v5, v0, v2, 4
	v_mad_i64_i32 v[2:3], s[26:27], s24, v1, 0
	s_add_u32 s11, s14, s16
	v_lshlrev_b64 v[2:3], 4, v[2:3]
	s_addc_u32 s14, s15, s17
	v_mov_b32_e32 v1, s14
	v_add_co_u32_e32 v2, vcc, s11, v2
	v_addc_co_u32_e32 v1, vcc, v1, v3, vcc
	v_lshlrev_b32_e32 v3, 4, v0
	v_add_co_u32_e32 v2, vcc, v2, v3
	v_addc_co_u32_e32 v1, vcc, 0, v1, vcc
	s_waitcnt lgkmcnt(0)
	v_mov_b32_e32 v3, s13
	v_add_co_u32_e32 v2, vcc, s12, v2
	s_lshl_b64 s[12:13], s[24:25], 4
	v_addc_co_u32_e32 v3, vcc, v3, v1, vcc
	s_mov_b64 s[14:15], 0
	v_mov_b32_e32 v1, s13
.LBB31_13:                              ; =>This Inner Loop Header: Depth=1
	global_load_dwordx4 v[6:9], v[2:3], off
	v_add_co_u32_e32 v2, vcc, s12, v2
	v_addc_co_u32_e32 v3, vcc, v3, v1, vcc
	v_add_u32_e32 v4, -1, v4
	v_cmp_eq_u32_e32 vcc, 0, v4
	s_or_b64 s[14:15], vcc, s[14:15]
	s_waitcnt vmcnt(0)
	ds_write2_b64 v5, v[6:7], v[8:9] offset1:1
	v_add_u32_e32 v5, s7, v5
	s_andn2_b64 exec, exec, s[14:15]
	s_cbranch_execnz .LBB31_13
.LBB31_14:
	s_or_b64 exec, exec, s[22:23]
	s_waitcnt lgkmcnt(0)
	s_barrier
	s_waitcnt lgkmcnt(0)
                                        ; implicit-def: $vgpr10
	s_and_saveexec_b64 s[12:13], s[2:3]
	s_xor_b64 s[2:3], exec, s[12:13]
; %bb.15:
	v_mad_u64_u32 v[10:11], s[12:13], v0, s10, v[0:1]
; %bb.16:
	s_andn2_saveexec_b64 s[12:13], s[2:3]
	s_cbranch_execz .LBB31_27
; %bb.17:
	v_mad_u64_u32 v[10:11], s[2:3], v0, s10, v[0:1]
	s_cmpk_eq_i32 s9, 0x84
	v_lshlrev_b32_e32 v1, 4, v10
	s_cbranch_scc1 .LBB31_25
; %bb.18:
	ds_read_b128 v[2:5], v1
	v_mov_b32_e32 v6, 0
	v_pk_mov_b32 v[8:9], 0, 0
	v_mov_b32_e32 v7, 0x3ff00000
	s_waitcnt lgkmcnt(0)
	v_cmp_neq_f64_e32 vcc, 0, v[2:3]
	v_cmp_neq_f64_e64 s[2:3], 0, v[4:5]
	s_or_b64 s[14:15], vcc, s[2:3]
	s_and_saveexec_b64 s[2:3], s[14:15]
	s_cbranch_execz .LBB31_24
; %bb.19:
	v_xor_b32_e32 v6, 0x80000000, v3
	v_cmp_gt_f64_e32 vcc, 0, v[2:3]
	v_cndmask_b32_e32 v7, v3, v6, vcc
	v_cndmask_b32_e32 v6, v2, v2, vcc
	v_xor_b32_e32 v8, 0x80000000, v5
	v_cmp_gt_f64_e32 vcc, 0, v[4:5]
	v_cndmask_b32_e32 v9, v5, v8, vcc
	v_cndmask_b32_e32 v8, v4, v4, vcc
	v_cmp_ngt_f64_e32 vcc, v[6:7], v[8:9]
                                        ; implicit-def: $vgpr8_vgpr9
	s_and_saveexec_b64 s[14:15], vcc
	s_xor_b64 s[14:15], exec, s[14:15]
	s_cbranch_execz .LBB31_21
; %bb.20:
	v_div_scale_f64 v[6:7], s[16:17], v[4:5], v[4:5], v[2:3]
	v_rcp_f64_e32 v[8:9], v[6:7]
	v_div_scale_f64 v[12:13], vcc, v[2:3], v[4:5], v[2:3]
	v_fma_f64 v[14:15], -v[6:7], v[8:9], 1.0
	v_fmac_f64_e32 v[8:9], v[8:9], v[14:15]
	v_fma_f64 v[14:15], -v[6:7], v[8:9], 1.0
	v_fmac_f64_e32 v[8:9], v[8:9], v[14:15]
	v_mul_f64 v[14:15], v[12:13], v[8:9]
	v_fma_f64 v[6:7], -v[6:7], v[14:15], v[12:13]
	v_div_fmas_f64 v[6:7], v[6:7], v[8:9], v[14:15]
	v_div_fixup_f64 v[6:7], v[6:7], v[4:5], v[2:3]
	v_fmac_f64_e32 v[4:5], v[2:3], v[6:7]
	v_div_scale_f64 v[2:3], s[16:17], v[4:5], v[4:5], 1.0
	v_rcp_f64_e32 v[8:9], v[2:3]
	v_fma_f64 v[12:13], -v[2:3], v[8:9], 1.0
	v_fmac_f64_e32 v[8:9], v[8:9], v[12:13]
	v_fma_f64 v[12:13], -v[2:3], v[8:9], 1.0
	v_fmac_f64_e32 v[8:9], v[8:9], v[12:13]
	v_div_scale_f64 v[12:13], vcc, 1.0, v[4:5], 1.0
	v_mul_f64 v[14:15], v[12:13], v[8:9]
	v_fma_f64 v[2:3], -v[2:3], v[14:15], v[12:13]
	s_nop 1
	v_div_fmas_f64 v[2:3], v[2:3], v[8:9], v[14:15]
	v_div_fixup_f64 v[8:9], v[2:3], v[4:5], 1.0
	v_mul_f64 v[6:7], v[6:7], v[8:9]
	v_xor_b32_e32 v9, 0x80000000, v9
                                        ; implicit-def: $vgpr2_vgpr3
.LBB31_21:
	s_andn2_saveexec_b64 s[14:15], s[14:15]
	s_cbranch_execz .LBB31_23
; %bb.22:
	v_div_scale_f64 v[6:7], s[16:17], v[2:3], v[2:3], v[4:5]
	v_rcp_f64_e32 v[8:9], v[6:7]
	v_div_scale_f64 v[12:13], vcc, v[4:5], v[2:3], v[4:5]
	v_fma_f64 v[14:15], -v[6:7], v[8:9], 1.0
	v_fmac_f64_e32 v[8:9], v[8:9], v[14:15]
	v_fma_f64 v[14:15], -v[6:7], v[8:9], 1.0
	v_fmac_f64_e32 v[8:9], v[8:9], v[14:15]
	v_mul_f64 v[14:15], v[12:13], v[8:9]
	v_fma_f64 v[6:7], -v[6:7], v[14:15], v[12:13]
	v_div_fmas_f64 v[6:7], v[6:7], v[8:9], v[14:15]
	v_div_fixup_f64 v[8:9], v[6:7], v[2:3], v[4:5]
	v_fmac_f64_e32 v[2:3], v[4:5], v[8:9]
	v_div_scale_f64 v[4:5], s[16:17], v[2:3], v[2:3], 1.0
	v_rcp_f64_e32 v[6:7], v[4:5]
	v_fma_f64 v[12:13], -v[4:5], v[6:7], 1.0
	v_fmac_f64_e32 v[6:7], v[6:7], v[12:13]
	v_fma_f64 v[12:13], -v[4:5], v[6:7], 1.0
	v_fmac_f64_e32 v[6:7], v[6:7], v[12:13]
	v_div_scale_f64 v[12:13], vcc, 1.0, v[2:3], 1.0
	v_mul_f64 v[14:15], v[12:13], v[6:7]
	v_fma_f64 v[4:5], -v[4:5], v[14:15], v[12:13]
	s_nop 1
	v_div_fmas_f64 v[4:5], v[4:5], v[6:7], v[14:15]
	v_div_fixup_f64 v[6:7], v[4:5], v[2:3], 1.0
	v_mul_f64 v[8:9], v[8:9], -v[6:7]
.LBB31_23:
	s_or_b64 exec, exec, s[14:15]
.LBB31_24:
	s_or_b64 exec, exec, s[2:3]
	s_branch .LBB31_26
.LBB31_25:
	v_mov_b32_e32 v6, 0
	v_mov_b32_e32 v7, 0x3ff00000
	v_pk_mov_b32 v[8:9], 0, 0
.LBB31_26:
	ds_write_b128 v1, v[6:9]
.LBB31_27:
	s_or_b64 exec, exec, s[12:13]
	s_lshl_b32 s11, s10, 4
	v_lshlrev_b32_e32 v1, 4, v10
	s_mov_b32 s7, 16
	s_add_i32 s9, s11, 16
	v_add_lshl_u32 v6, v0, s10, 4
	s_mov_b32 s12, 0
	s_waitcnt lgkmcnt(0)
	s_barrier
	s_branch .LBB31_29
.LBB31_28:                              ;   in Loop: Header=BB31_29 Depth=1
	s_add_i32 s7, s7, s9
	s_cmp_eq_u32 s12, s10
	v_add_u32_e32 v6, s11, v6
	s_barrier
	s_cbranch_scc1 .LBB31_38
.LBB31_29:                              ; =>This Loop Header: Depth=1
                                        ;     Child Loop BB31_34 Depth 2
	v_pk_mov_b32 v[2:3], 0, 0
	s_mul_i32 s13, s12, s10
	v_cmp_lt_u32_e32 vcc, s12, v0
	v_add_lshl_u32 v7, s13, v0, 4
	v_pk_mov_b32 v[4:5], v[2:3], v[2:3] op_sel:[0,1]
	s_and_saveexec_b64 s[2:3], vcc
	s_cbranch_execz .LBB31_31
; %bb.30:                               ;   in Loop: Header=BB31_29 Depth=1
	s_add_i32 s13, s13, s12
	s_lshl_b32 s13, s13, 4
	v_mov_b32_e32 v2, s13
	ds_read_b128 v[2:5], v2
	ds_read_b128 v[8:11], v7
	s_waitcnt lgkmcnt(0)
	v_mul_f64 v[12:13], v[4:5], v[10:11]
	v_mul_f64 v[10:11], v[2:3], v[10:11]
	v_fma_f64 v[2:3], v[2:3], v[8:9], -v[12:13]
	v_fmac_f64_e32 v[10:11], v[4:5], v[8:9]
	v_add_f64 v[2:3], v[2:3], 0
	v_add_f64 v[4:5], v[10:11], 0
.LBB31_31:                              ;   in Loop: Header=BB31_29 Depth=1
	s_or_b64 exec, exec, s[2:3]
	s_add_i32 s12, s12, 1
	s_cmp_ge_i32 s12, s10
	s_barrier
	s_cbranch_scc1 .LBB31_28
; %bb.32:                               ;   in Loop: Header=BB31_29 Depth=1
	v_mov_b32_e32 v8, v6
	s_mov_b32 s13, s7
	s_mov_b32 s14, s12
	s_branch .LBB31_34
.LBB31_33:                              ;   in Loop: Header=BB31_34 Depth=2
	s_or_b64 exec, exec, s[2:3]
	s_add_i32 s14, s14, 1
	s_add_i32 s13, s13, 16
	s_cmp_ge_i32 s14, s10
	v_add_u32_e32 v8, s11, v8
	s_barrier
	s_cbranch_scc1 .LBB31_28
.LBB31_34:                              ;   Parent Loop BB31_29 Depth=1
                                        ; =>  This Inner Loop Header: Depth=2
	v_cmp_eq_u32_e32 vcc, s14, v0
	s_and_saveexec_b64 s[2:3], vcc
	s_cbranch_execz .LBB31_36
; %bb.35:                               ;   in Loop: Header=BB31_34 Depth=2
	ds_read_b128 v[10:13], v1
	v_add_f64 v[16:17], -v[2:3], 0
	s_waitcnt lgkmcnt(0)
	v_mul_f64 v[14:15], v[4:5], v[12:13]
	v_mul_f64 v[18:19], v[4:5], v[10:11]
	v_fmac_f64_e32 v[14:15], v[16:17], v[10:11]
	v_fma_f64 v[16:17], v[16:17], v[12:13], -v[18:19]
	ds_write_b128 v7, v[14:17]
.LBB31_36:                              ;   in Loop: Header=BB31_34 Depth=2
	s_or_b64 exec, exec, s[2:3]
	v_cmp_lt_u32_e32 vcc, s14, v0
	s_waitcnt lgkmcnt(0)
	s_barrier
	s_and_saveexec_b64 s[2:3], vcc
	s_cbranch_execz .LBB31_33
; %bb.37:                               ;   in Loop: Header=BB31_34 Depth=2
	v_mov_b32_e32 v9, s13
	ds_read_b128 v[10:13], v8
	ds_read_b128 v[14:17], v9
	s_waitcnt lgkmcnt(0)
	v_mul_f64 v[18:19], v[16:17], v[12:13]
	v_mul_f64 v[12:13], v[14:15], v[12:13]
	v_fma_f64 v[14:15], v[14:15], v[10:11], -v[18:19]
	v_fmac_f64_e32 v[12:13], v[16:17], v[10:11]
	v_add_f64 v[2:3], v[2:3], v[14:15]
	v_add_f64 v[4:5], v[4:5], v[12:13]
	s_branch .LBB31_33
.LBB31_38:
	s_and_saveexec_b64 s[2:3], s[0:1]
	s_cbranch_execz .LBB31_51
; %bb.39:
	s_load_dwordx2 s[2:3], s[4:5], 0x58
	s_load_dword s0, s[4:5], 0x48
	s_mov_b64 s[4:5], -1
	v_lshlrev_b32_e32 v1, 4, v0
	s_waitcnt lgkmcnt(0)
	s_mul_i32 s1, s6, s3
	s_mul_hi_u32 s3, s6, s2
	s_add_i32 s3, s3, s1
	s_mul_i32 s2, s6, s2
	s_cmpk_lg_i32 s8, 0x7a
	s_cbranch_scc0 .LBB31_43
; %bb.40:
	s_add_i32 s6, s10, -1
	s_ashr_i32 s1, s0, 31
	s_mul_i32 s7, s1, s6
	s_mul_hi_u32 s8, s0, s6
	s_add_i32 s7, s8, s7
	s_mul_i32 s6, s0, s6
	s_lshl_b64 s[4:5], s[2:3], 4
	s_lshl_b64 s[6:7], s[6:7], 4
	s_add_u32 s6, s4, s6
	s_addc_u32 s7, s5, s7
	s_lshl_b64 s[4:5], s[20:21], 4
	s_add_u32 s4, s6, s4
	s_addc_u32 s5, s7, s5
	s_add_u32 s4, s18, s4
	s_addc_u32 s5, s19, s5
	s_lshl_b64 s[6:7], s[0:1], 4
	v_lshlrev_b32_e32 v4, 4, v0
	s_sub_u32 s1, 0, s6
	v_mov_b32_e32 v3, s5
	v_add_co_u32_e32 v2, vcc, s4, v4
	s_subb_u32 s6, 0, s7
	v_sub_u32_e32 v4, s11, v4
	v_addc_co_u32_e32 v3, vcc, 0, v3, vcc
	s_mov_b64 s[4:5], 0
	v_add_u32_e32 v4, -16, v4
	v_mov_b32_e32 v5, s6
	s_mov_b32 s6, s10
.LBB31_41:                              ; =>This Inner Loop Header: Depth=1
	ds_read2_b64 v[6:9], v4 offset1:1
	s_add_i32 s6, s6, -1
	v_cmp_le_i32_e32 vcc, s6, v0
	s_or_b64 s[4:5], vcc, s[4:5]
	v_add_u32_e32 v4, s11, v4
	s_waitcnt lgkmcnt(0)
	global_store_dwordx4 v[2:3], v[6:9], off
	v_add_co_u32_e32 v2, vcc, s1, v2
	v_addc_co_u32_e32 v3, vcc, v3, v5, vcc
	s_andn2_b64 exec, exec, s[4:5]
	s_cbranch_execnz .LBB31_41
; %bb.42:
	s_or_b64 exec, exec, s[4:5]
	s_mov_b64 s[4:5], 0
.LBB31_43:
	s_and_b64 vcc, exec, s[4:5]
	s_cbranch_vccz .LBB31_51
; %bb.44:
	v_mov_b32_e32 v4, 0
	s_ashr_i32 s1, s0, 31
	v_add_u32_e32 v5, 1, v0
	v_cmp_lt_u32_e32 vcc, 2, v0
	s_and_saveexec_b64 s[4:5], vcc
	s_cbranch_execz .LBB31_48
; %bb.45:
	s_lshl_b64 s[6:7], s[20:21], 4
	s_add_u32 s8, s18, s6
	s_addc_u32 s9, s19, s7
	s_lshl_b64 s[6:7], s[2:3], 4
	s_add_u32 s6, s8, s6
	s_addc_u32 s7, s9, s7
	v_mov_b32_e32 v3, s7
	v_add_co_u32_e32 v2, vcc, s6, v1
	s_mul_hi_i32 s25, s0, 48
	s_lshl_b64 s[6:7], s[0:1], 6
	s_lshl_b64 s[8:9], s[0:1], 5
	;; [unrolled: 1-line block ×3, first 2 shown]
	v_addc_co_u32_e32 v3, vcc, 0, v3, vcc
	v_and_b32_e32 v4, 0x7fc, v5
	s_mul_i32 s16, s0, 48
	s_lshl_b32 s17, s10, 6
	s_lshl_b32 s22, s10, 5
	s_mul_i32 s23, s10, 48
	s_mov_b32 s24, 0
	s_mov_b64 s[14:15], 0
	v_mov_b32_e32 v6, s13
	v_mov_b32_e32 v7, s9
	;; [unrolled: 1-line block ×5, first 2 shown]
.LBB31_46:                              ; =>This Inner Loop Header: Depth=1
	v_add_co_u32_e32 v28, vcc, s12, v2
	v_addc_co_u32_e32 v29, vcc, v3, v6, vcc
	ds_read2_b64 v[12:15], v10 offset1:1
	v_add_co_u32_e32 v30, vcc, s8, v2
	v_add_u32_e32 v11, s11, v10
	v_add_u32_e32 v20, s22, v10
	v_addc_co_u32_e32 v31, vcc, v3, v7, vcc
	v_add_u32_e32 v24, s23, v10
	v_add_co_u32_e32 v32, vcc, s16, v2
	ds_read2_b64 v[16:19], v11 offset1:1
	ds_read2_b64 v[20:23], v20 offset1:1
	;; [unrolled: 1-line block ×3, first 2 shown]
	v_addc_co_u32_e32 v33, vcc, v3, v8, vcc
	s_add_i32 s24, s24, 4
	v_cmp_eq_u32_e32 vcc, s24, v4
	s_or_b64 s[14:15], vcc, s[14:15]
	s_waitcnt lgkmcnt(3)
	global_store_dwordx4 v[2:3], v[12:15], off
	v_add_co_u32_e32 v2, vcc, s6, v2
	v_add_u32_e32 v10, s17, v10
	v_addc_co_u32_e32 v3, vcc, v3, v9, vcc
	s_waitcnt lgkmcnt(2)
	global_store_dwordx4 v[28:29], v[16:19], off
	s_waitcnt lgkmcnt(1)
	global_store_dwordx4 v[30:31], v[20:23], off
	;; [unrolled: 2-line block ×3, first 2 shown]
	s_andn2_b64 exec, exec, s[14:15]
	s_cbranch_execnz .LBB31_46
; %bb.47:
	s_or_b64 exec, exec, s[14:15]
.LBB31_48:
	s_or_b64 exec, exec, s[4:5]
	v_and_b32_e32 v5, 3, v5
	v_cmp_ne_u32_e32 vcc, 0, v5
	s_and_b64 exec, exec, vcc
	s_cbranch_execz .LBB31_51
; %bb.49:
	v_mad_i64_i32 v[2:3], s[4:5], s0, v4, 0
	s_lshl_b64 s[2:3], s[2:3], 4
	s_lshl_b64 s[4:5], s[20:21], 4
	s_add_u32 s2, s4, s2
	v_lshlrev_b64 v[2:3], 4, v[2:3]
	s_addc_u32 s3, s5, s3
	v_mov_b32_e32 v6, s3
	v_add_co_u32_e32 v2, vcc, s2, v2
	v_addc_co_u32_e32 v3, vcc, v6, v3, vcc
	v_add_co_u32_e32 v1, vcc, v2, v1
	v_addc_co_u32_e32 v3, vcc, 0, v3, vcc
	v_mov_b32_e32 v6, s19
	v_add_co_u32_e32 v2, vcc, s18, v1
	s_lshl_b64 s[0:1], s[0:1], 4
	v_mul_lo_u32 v1, v4, s10
	v_addc_co_u32_e32 v3, vcc, v6, v3, vcc
	v_add_lshl_u32 v0, v0, v1, 4
	s_mov_b64 s[2:3], 0
	v_mov_b32_e32 v1, s1
.LBB31_50:                              ; =>This Inner Loop Header: Depth=1
	ds_read2_b64 v[6:9], v0 offset1:1
	v_add_u32_e32 v5, -1, v5
	v_cmp_eq_u32_e32 vcc, 0, v5
	s_or_b64 s[2:3], vcc, s[2:3]
	v_add_u32_e32 v0, s11, v0
	s_waitcnt lgkmcnt(0)
	global_store_dwordx4 v[2:3], v[6:9], off
	v_add_co_u32_e32 v2, vcc, s0, v2
	v_addc_co_u32_e32 v3, vcc, v3, v1, vcc
	s_andn2_b64 exec, exec, s[2:3]
	s_cbranch_execnz .LBB31_50
.LBB31_51:
	s_endpgm
	.section	.rodata,"a",@progbits
	.p2align	6, 0x0
	.amdhsa_kernel _ZL30rocblas_trtri_remainder_kernelILi16E19rocblas_complex_numIdEPKPKS1_PKPS1_Ev13rocblas_fill_17rocblas_diagonal_iT1_lillT2_lilli
		.amdhsa_group_segment_fixed_size 16384
		.amdhsa_private_segment_fixed_size 0
		.amdhsa_kernarg_size 100
		.amdhsa_user_sgpr_count 6
		.amdhsa_user_sgpr_private_segment_buffer 1
		.amdhsa_user_sgpr_dispatch_ptr 0
		.amdhsa_user_sgpr_queue_ptr 0
		.amdhsa_user_sgpr_kernarg_segment_ptr 1
		.amdhsa_user_sgpr_dispatch_id 0
		.amdhsa_user_sgpr_flat_scratch_init 0
		.amdhsa_user_sgpr_kernarg_preload_length 0
		.amdhsa_user_sgpr_kernarg_preload_offset 0
		.amdhsa_user_sgpr_private_segment_size 0
		.amdhsa_uses_dynamic_stack 0
		.amdhsa_system_sgpr_private_segment_wavefront_offset 0
		.amdhsa_system_sgpr_workgroup_id_x 1
		.amdhsa_system_sgpr_workgroup_id_y 0
		.amdhsa_system_sgpr_workgroup_id_z 1
		.amdhsa_system_sgpr_workgroup_info 0
		.amdhsa_system_vgpr_workitem_id 0
		.amdhsa_next_free_vgpr 34
		.amdhsa_next_free_sgpr 42
		.amdhsa_accum_offset 36
		.amdhsa_reserve_vcc 1
		.amdhsa_reserve_flat_scratch 0
		.amdhsa_float_round_mode_32 0
		.amdhsa_float_round_mode_16_64 0
		.amdhsa_float_denorm_mode_32 3
		.amdhsa_float_denorm_mode_16_64 3
		.amdhsa_dx10_clamp 1
		.amdhsa_ieee_mode 1
		.amdhsa_fp16_overflow 0
		.amdhsa_tg_split 0
		.amdhsa_exception_fp_ieee_invalid_op 0
		.amdhsa_exception_fp_denorm_src 0
		.amdhsa_exception_fp_ieee_div_zero 0
		.amdhsa_exception_fp_ieee_overflow 0
		.amdhsa_exception_fp_ieee_underflow 0
		.amdhsa_exception_fp_ieee_inexact 0
		.amdhsa_exception_int_div_zero 0
	.end_amdhsa_kernel
	.section	.text._ZL30rocblas_trtri_remainder_kernelILi16E19rocblas_complex_numIdEPKPKS1_PKPS1_Ev13rocblas_fill_17rocblas_diagonal_iT1_lillT2_lilli,"axG",@progbits,_ZL30rocblas_trtri_remainder_kernelILi16E19rocblas_complex_numIdEPKPKS1_PKPS1_Ev13rocblas_fill_17rocblas_diagonal_iT1_lillT2_lilli,comdat
.Lfunc_end31:
	.size	_ZL30rocblas_trtri_remainder_kernelILi16E19rocblas_complex_numIdEPKPKS1_PKPS1_Ev13rocblas_fill_17rocblas_diagonal_iT1_lillT2_lilli, .Lfunc_end31-_ZL30rocblas_trtri_remainder_kernelILi16E19rocblas_complex_numIdEPKPKS1_PKPS1_Ev13rocblas_fill_17rocblas_diagonal_iT1_lillT2_lilli
                                        ; -- End function
	.section	.AMDGPU.csdata,"",@progbits
; Kernel info:
; codeLenInByte = 2476
; NumSgprs: 46
; NumVgprs: 34
; NumAgprs: 0
; TotalNumVgprs: 34
; ScratchSize: 0
; MemoryBound: 0
; FloatMode: 240
; IeeeMode: 1
; LDSByteSize: 16384 bytes/workgroup (compile time only)
; SGPRBlocks: 5
; VGPRBlocks: 4
; NumSGPRsForWavesPerEU: 46
; NumVGPRsForWavesPerEU: 34
; AccumOffset: 36
; Occupancy: 8
; WaveLimiterHint : 0
; COMPUTE_PGM_RSRC2:SCRATCH_EN: 0
; COMPUTE_PGM_RSRC2:USER_SGPR: 6
; COMPUTE_PGM_RSRC2:TRAP_HANDLER: 0
; COMPUTE_PGM_RSRC2:TGID_X_EN: 1
; COMPUTE_PGM_RSRC2:TGID_Y_EN: 0
; COMPUTE_PGM_RSRC2:TGID_Z_EN: 1
; COMPUTE_PGM_RSRC2:TIDIG_COMP_CNT: 0
; COMPUTE_PGM_RSRC3_GFX90A:ACCUM_OFFSET: 8
; COMPUTE_PGM_RSRC3_GFX90A:TG_SPLIT: 0
	.text
	.p2alignl 6, 3212836864
	.fill 256, 4, 3212836864
	.type	__hip_cuid_6e8d95049d777126,@object ; @__hip_cuid_6e8d95049d777126
	.section	.bss,"aw",@nobits
	.globl	__hip_cuid_6e8d95049d777126
__hip_cuid_6e8d95049d777126:
	.byte	0                               ; 0x0
	.size	__hip_cuid_6e8d95049d777126, 1

	.ident	"AMD clang version 19.0.0git (https://github.com/RadeonOpenCompute/llvm-project roc-6.4.0 25133 c7fe45cf4b819c5991fe208aaa96edf142730f1d)"
	.section	".note.GNU-stack","",@progbits
	.addrsig
	.addrsig_sym __hip_cuid_6e8d95049d777126
	.amdgpu_metadata
---
amdhsa.kernels:
  - .agpr_count:     0
    .args:
      - .address_space:  global
        .offset:         0
        .size:           8
        .value_kind:     global_buffer
      - .offset:         8
        .size:           4
        .value_kind:     by_value
      - .offset:         12
        .size:           4
        .value_kind:     by_value
      - .offset:         16
        .size:           8
        .value_kind:     by_value
      - .offset:         24
        .size:           4
        .value_kind:     by_value
      - .offset:         32
        .size:           8
        .value_kind:     by_value
      - .address_space:  global
        .offset:         40
        .size:           8
        .value_kind:     global_buffer
      - .offset:         48
        .size:           8
        .value_kind:     by_value
      - .offset:         56
        .size:           8
        .value_kind:     by_value
      - .offset:         64
        .size:           4
        .value_kind:     by_value
      - .offset:         68
        .size:           4
        .value_kind:     by_value
      - .offset:         72
        .size:           4
        .value_kind:     hidden_block_count_x
      - .offset:         76
        .size:           4
        .value_kind:     hidden_block_count_y
      - .offset:         80
        .size:           4
        .value_kind:     hidden_block_count_z
      - .offset:         84
        .size:           2
        .value_kind:     hidden_group_size_x
      - .offset:         86
        .size:           2
        .value_kind:     hidden_group_size_y
      - .offset:         88
        .size:           2
        .value_kind:     hidden_group_size_z
      - .offset:         90
        .size:           2
        .value_kind:     hidden_remainder_x
      - .offset:         92
        .size:           2
        .value_kind:     hidden_remainder_y
      - .offset:         94
        .size:           2
        .value_kind:     hidden_remainder_z
      - .offset:         112
        .size:           8
        .value_kind:     hidden_global_offset_x
      - .offset:         120
        .size:           8
        .value_kind:     hidden_global_offset_y
      - .offset:         128
        .size:           8
        .value_kind:     hidden_global_offset_z
      - .offset:         136
        .size:           2
        .value_kind:     hidden_grid_dims
    .group_segment_fixed_size: 0
    .kernarg_segment_align: 8
    .kernarg_segment_size: 328
    .language:       OpenCL C
    .language_version:
      - 2
      - 0
    .max_flat_workgroup_size: 128
    .name:           _ZL18rocblas_trtri_fillILi128EfPfEvP15_rocblas_handle13rocblas_fill_ililT1_llii
    .private_segment_fixed_size: 0
    .sgpr_count:     32
    .sgpr_spill_count: 0
    .symbol:         _ZL18rocblas_trtri_fillILi128EfPfEvP15_rocblas_handle13rocblas_fill_ililT1_llii.kd
    .uniform_work_group_size: 1
    .uses_dynamic_stack: false
    .vgpr_count:     26
    .vgpr_spill_count: 0
    .wavefront_size: 64
  - .agpr_count:     0
    .args:
      - .offset:         0
        .size:           4
        .value_kind:     by_value
      - .offset:         4
        .size:           4
        .value_kind:     by_value
      - .offset:         8
        .size:           4
        .value_kind:     by_value
      - .address_space:  global
        .offset:         16
        .size:           8
        .value_kind:     global_buffer
      - .offset:         24
        .size:           8
        .value_kind:     by_value
      - .offset:         32
        .size:           4
        .value_kind:     by_value
      - .offset:         40
        .size:           8
        .value_kind:     by_value
      - .offset:         48
        .size:           8
        .value_kind:     by_value
      - .address_space:  global
        .offset:         56
        .size:           8
        .value_kind:     global_buffer
      - .offset:         64
        .size:           8
        .value_kind:     by_value
      - .offset:         72
        .size:           4
        .value_kind:     by_value
      - .offset:         80
        .size:           8
        .value_kind:     by_value
      - .offset:         88
        .size:           8
        .value_kind:     by_value
      - .offset:         96
        .size:           4
        .value_kind:     by_value
    .group_segment_fixed_size: 1024
    .kernarg_segment_align: 8
    .kernarg_segment_size: 100
    .language:       OpenCL C
    .language_version:
      - 2
      - 0
    .max_flat_workgroup_size: 16
    .name:           _ZL26rocblas_trtri_small_kernelILi16EfPKfPfEv13rocblas_fill_17rocblas_diagonal_iT1_lillT2_lilli
    .private_segment_fixed_size: 0
    .sgpr_count:     50
    .sgpr_spill_count: 0
    .symbol:         _ZL26rocblas_trtri_small_kernelILi16EfPKfPfEv13rocblas_fill_17rocblas_diagonal_iT1_lillT2_lilli.kd
    .uniform_work_group_size: 1
    .uses_dynamic_stack: false
    .vgpr_count:     11
    .vgpr_spill_count: 0
    .wavefront_size: 64
  - .agpr_count:     0
    .args:
      - .offset:         0
        .size:           4
        .value_kind:     by_value
      - .offset:         4
        .size:           4
        .value_kind:     by_value
      - .offset:         8
        .size:           4
        .value_kind:     by_value
      - .address_space:  global
        .offset:         16
        .size:           8
        .value_kind:     global_buffer
      - .offset:         24
        .size:           8
        .value_kind:     by_value
      - .offset:         32
        .size:           4
        .value_kind:     by_value
      - .offset:         40
        .size:           8
        .value_kind:     by_value
      - .offset:         48
        .size:           8
        .value_kind:     by_value
      - .address_space:  global
        .offset:         56
        .size:           8
        .value_kind:     global_buffer
      - .offset:         64
        .size:           8
        .value_kind:     by_value
      - .offset:         72
        .size:           4
        .value_kind:     by_value
      - .offset:         80
        .size:           8
        .value_kind:     by_value
      - .offset:         88
        .size:           8
        .value_kind:     by_value
      - .offset:         96
        .size:           4
        .value_kind:     by_value
    .group_segment_fixed_size: 4096
    .kernarg_segment_align: 8
    .kernarg_segment_size: 100
    .language:       OpenCL C
    .language_version:
      - 2
      - 0
    .max_flat_workgroup_size: 256
    .name:           _ZL29rocblas_trtri_diagonal_kernelILi16EfPKfPfEv13rocblas_fill_17rocblas_diagonal_iT1_lillT2_lilli
    .private_segment_fixed_size: 0
    .sgpr_count:     53
    .sgpr_spill_count: 0
    .symbol:         _ZL29rocblas_trtri_diagonal_kernelILi16EfPKfPfEv13rocblas_fill_17rocblas_diagonal_iT1_lillT2_lilli.kd
    .uniform_work_group_size: 1
    .uses_dynamic_stack: false
    .vgpr_count:     33
    .vgpr_spill_count: 0
    .wavefront_size: 64
  - .agpr_count:     0
    .args:
      - .offset:         0
        .size:           4
        .value_kind:     by_value
      - .offset:         4
        .size:           4
        .value_kind:     by_value
      - .offset:         8
        .size:           4
        .value_kind:     by_value
      - .address_space:  global
        .offset:         16
        .size:           8
        .value_kind:     global_buffer
      - .offset:         24
        .size:           8
        .value_kind:     by_value
      - .offset:         32
        .size:           4
        .value_kind:     by_value
      - .offset:         40
        .size:           8
        .value_kind:     by_value
      - .offset:         48
        .size:           8
        .value_kind:     by_value
      - .address_space:  global
        .offset:         56
        .size:           8
        .value_kind:     global_buffer
      - .offset:         64
        .size:           8
        .value_kind:     by_value
      - .offset:         72
        .size:           4
        .value_kind:     by_value
      - .offset:         80
        .size:           8
        .value_kind:     by_value
      - .offset:         88
        .size:           8
        .value_kind:     by_value
      - .offset:         96
        .size:           4
        .value_kind:     by_value
    .group_segment_fixed_size: 4096
    .kernarg_segment_align: 8
    .kernarg_segment_size: 100
    .language:       OpenCL C
    .language_version:
      - 2
      - 0
    .max_flat_workgroup_size: 1024
    .name:           _ZL30rocblas_trtri_remainder_kernelILi16EfPKfPfEv13rocblas_fill_17rocblas_diagonal_iT1_lillT2_lilli
    .private_segment_fixed_size: 0
    .sgpr_count:     50
    .sgpr_spill_count: 0
    .symbol:         _ZL30rocblas_trtri_remainder_kernelILi16EfPKfPfEv13rocblas_fill_17rocblas_diagonal_iT1_lillT2_lilli.kd
    .uniform_work_group_size: 1
    .uses_dynamic_stack: false
    .vgpr_count:     11
    .vgpr_spill_count: 0
    .wavefront_size: 64
  - .agpr_count:     0
    .args:
      - .address_space:  global
        .offset:         0
        .size:           8
        .value_kind:     global_buffer
      - .offset:         8
        .size:           4
        .value_kind:     by_value
      - .offset:         12
        .size:           4
        .value_kind:     by_value
      - .offset:         16
        .size:           8
        .value_kind:     by_value
      - .offset:         24
        .size:           4
        .value_kind:     by_value
      - .offset:         32
        .size:           8
        .value_kind:     by_value
      - .address_space:  global
        .offset:         40
        .size:           8
        .value_kind:     global_buffer
      - .offset:         48
        .size:           8
        .value_kind:     by_value
      - .offset:         56
        .size:           8
        .value_kind:     by_value
      - .offset:         64
        .size:           4
        .value_kind:     by_value
      - .offset:         68
        .size:           4
        .value_kind:     by_value
      - .offset:         72
        .size:           4
        .value_kind:     hidden_block_count_x
      - .offset:         76
        .size:           4
        .value_kind:     hidden_block_count_y
      - .offset:         80
        .size:           4
        .value_kind:     hidden_block_count_z
      - .offset:         84
        .size:           2
        .value_kind:     hidden_group_size_x
      - .offset:         86
        .size:           2
        .value_kind:     hidden_group_size_y
      - .offset:         88
        .size:           2
        .value_kind:     hidden_group_size_z
      - .offset:         90
        .size:           2
        .value_kind:     hidden_remainder_x
      - .offset:         92
        .size:           2
        .value_kind:     hidden_remainder_y
      - .offset:         94
        .size:           2
        .value_kind:     hidden_remainder_z
      - .offset:         112
        .size:           8
        .value_kind:     hidden_global_offset_x
      - .offset:         120
        .size:           8
        .value_kind:     hidden_global_offset_y
      - .offset:         128
        .size:           8
        .value_kind:     hidden_global_offset_z
      - .offset:         136
        .size:           2
        .value_kind:     hidden_grid_dims
    .group_segment_fixed_size: 0
    .kernarg_segment_align: 8
    .kernarg_segment_size: 328
    .language:       OpenCL C
    .language_version:
      - 2
      - 0
    .max_flat_workgroup_size: 128
    .name:           _ZL18rocblas_trtri_fillILi128EdPdEvP15_rocblas_handle13rocblas_fill_ililT1_llii
    .private_segment_fixed_size: 0
    .sgpr_count:     32
    .sgpr_spill_count: 0
    .symbol:         _ZL18rocblas_trtri_fillILi128EdPdEvP15_rocblas_handle13rocblas_fill_ililT1_llii.kd
    .uniform_work_group_size: 1
    .uses_dynamic_stack: false
    .vgpr_count:     26
    .vgpr_spill_count: 0
    .wavefront_size: 64
  - .agpr_count:     0
    .args:
      - .offset:         0
        .size:           4
        .value_kind:     by_value
      - .offset:         4
        .size:           4
        .value_kind:     by_value
      - .offset:         8
        .size:           4
        .value_kind:     by_value
      - .address_space:  global
        .offset:         16
        .size:           8
        .value_kind:     global_buffer
      - .offset:         24
        .size:           8
        .value_kind:     by_value
      - .offset:         32
        .size:           4
        .value_kind:     by_value
      - .offset:         40
        .size:           8
        .value_kind:     by_value
      - .offset:         48
        .size:           8
        .value_kind:     by_value
      - .address_space:  global
        .offset:         56
        .size:           8
        .value_kind:     global_buffer
      - .offset:         64
        .size:           8
        .value_kind:     by_value
      - .offset:         72
        .size:           4
        .value_kind:     by_value
      - .offset:         80
        .size:           8
        .value_kind:     by_value
      - .offset:         88
        .size:           8
        .value_kind:     by_value
      - .offset:         96
        .size:           4
        .value_kind:     by_value
    .group_segment_fixed_size: 2048
    .kernarg_segment_align: 8
    .kernarg_segment_size: 100
    .language:       OpenCL C
    .language_version:
      - 2
      - 0
    .max_flat_workgroup_size: 16
    .name:           _ZL26rocblas_trtri_small_kernelILi16EdPKdPdEv13rocblas_fill_17rocblas_diagonal_iT1_lillT2_lilli
    .private_segment_fixed_size: 0
    .sgpr_count:     49
    .sgpr_spill_count: 0
    .symbol:         _ZL26rocblas_trtri_small_kernelILi16EdPKdPdEv13rocblas_fill_17rocblas_diagonal_iT1_lillT2_lilli.kd
    .uniform_work_group_size: 1
    .uses_dynamic_stack: false
    .vgpr_count:     26
    .vgpr_spill_count: 0
    .wavefront_size: 64
  - .agpr_count:     0
    .args:
      - .offset:         0
        .size:           4
        .value_kind:     by_value
      - .offset:         4
        .size:           4
        .value_kind:     by_value
      - .offset:         8
        .size:           4
        .value_kind:     by_value
      - .address_space:  global
        .offset:         16
        .size:           8
        .value_kind:     global_buffer
      - .offset:         24
        .size:           8
        .value_kind:     by_value
      - .offset:         32
        .size:           4
        .value_kind:     by_value
      - .offset:         40
        .size:           8
        .value_kind:     by_value
      - .offset:         48
        .size:           8
        .value_kind:     by_value
      - .address_space:  global
        .offset:         56
        .size:           8
        .value_kind:     global_buffer
      - .offset:         64
        .size:           8
        .value_kind:     by_value
      - .offset:         72
        .size:           4
        .value_kind:     by_value
      - .offset:         80
        .size:           8
        .value_kind:     by_value
      - .offset:         88
        .size:           8
        .value_kind:     by_value
      - .offset:         96
        .size:           4
        .value_kind:     by_value
    .group_segment_fixed_size: 8192
    .kernarg_segment_align: 8
    .kernarg_segment_size: 100
    .language:       OpenCL C
    .language_version:
      - 2
      - 0
    .max_flat_workgroup_size: 256
    .name:           _ZL29rocblas_trtri_diagonal_kernelILi16EdPKdPdEv13rocblas_fill_17rocblas_diagonal_iT1_lillT2_lilli
    .private_segment_fixed_size: 0
    .sgpr_count:     48
    .sgpr_spill_count: 0
    .symbol:         _ZL29rocblas_trtri_diagonal_kernelILi16EdPKdPdEv13rocblas_fill_17rocblas_diagonal_iT1_lillT2_lilli.kd
    .uniform_work_group_size: 1
    .uses_dynamic_stack: false
    .vgpr_count:     54
    .vgpr_spill_count: 0
    .wavefront_size: 64
  - .agpr_count:     0
    .args:
      - .offset:         0
        .size:           4
        .value_kind:     by_value
      - .offset:         4
        .size:           4
        .value_kind:     by_value
      - .offset:         8
        .size:           4
        .value_kind:     by_value
      - .address_space:  global
        .offset:         16
        .size:           8
        .value_kind:     global_buffer
      - .offset:         24
        .size:           8
        .value_kind:     by_value
      - .offset:         32
        .size:           4
        .value_kind:     by_value
      - .offset:         40
        .size:           8
        .value_kind:     by_value
      - .offset:         48
        .size:           8
        .value_kind:     by_value
      - .address_space:  global
        .offset:         56
        .size:           8
        .value_kind:     global_buffer
      - .offset:         64
        .size:           8
        .value_kind:     by_value
      - .offset:         72
        .size:           4
        .value_kind:     by_value
      - .offset:         80
        .size:           8
        .value_kind:     by_value
      - .offset:         88
        .size:           8
        .value_kind:     by_value
      - .offset:         96
        .size:           4
        .value_kind:     by_value
    .group_segment_fixed_size: 8192
    .kernarg_segment_align: 8
    .kernarg_segment_size: 100
    .language:       OpenCL C
    .language_version:
      - 2
      - 0
    .max_flat_workgroup_size: 1024
    .name:           _ZL30rocblas_trtri_remainder_kernelILi16EdPKdPdEv13rocblas_fill_17rocblas_diagonal_iT1_lillT2_lilli
    .private_segment_fixed_size: 0
    .sgpr_count:     49
    .sgpr_spill_count: 0
    .symbol:         _ZL30rocblas_trtri_remainder_kernelILi16EdPKdPdEv13rocblas_fill_17rocblas_diagonal_iT1_lillT2_lilli.kd
    .uniform_work_group_size: 1
    .uses_dynamic_stack: false
    .vgpr_count:     26
    .vgpr_spill_count: 0
    .wavefront_size: 64
  - .agpr_count:     0
    .args:
      - .address_space:  global
        .offset:         0
        .size:           8
        .value_kind:     global_buffer
      - .offset:         8
        .size:           4
        .value_kind:     by_value
      - .offset:         12
        .size:           4
        .value_kind:     by_value
      - .offset:         16
        .size:           8
        .value_kind:     by_value
      - .offset:         24
        .size:           4
        .value_kind:     by_value
      - .offset:         32
        .size:           8
        .value_kind:     by_value
      - .address_space:  global
        .offset:         40
        .size:           8
        .value_kind:     global_buffer
      - .offset:         48
        .size:           8
        .value_kind:     by_value
      - .offset:         56
        .size:           8
        .value_kind:     by_value
      - .offset:         64
        .size:           4
        .value_kind:     by_value
      - .offset:         68
        .size:           4
        .value_kind:     by_value
      - .offset:         72
        .size:           4
        .value_kind:     hidden_block_count_x
      - .offset:         76
        .size:           4
        .value_kind:     hidden_block_count_y
      - .offset:         80
        .size:           4
        .value_kind:     hidden_block_count_z
      - .offset:         84
        .size:           2
        .value_kind:     hidden_group_size_x
      - .offset:         86
        .size:           2
        .value_kind:     hidden_group_size_y
      - .offset:         88
        .size:           2
        .value_kind:     hidden_group_size_z
      - .offset:         90
        .size:           2
        .value_kind:     hidden_remainder_x
      - .offset:         92
        .size:           2
        .value_kind:     hidden_remainder_y
      - .offset:         94
        .size:           2
        .value_kind:     hidden_remainder_z
      - .offset:         112
        .size:           8
        .value_kind:     hidden_global_offset_x
      - .offset:         120
        .size:           8
        .value_kind:     hidden_global_offset_y
      - .offset:         128
        .size:           8
        .value_kind:     hidden_global_offset_z
      - .offset:         136
        .size:           2
        .value_kind:     hidden_grid_dims
    .group_segment_fixed_size: 0
    .kernarg_segment_align: 8
    .kernarg_segment_size: 328
    .language:       OpenCL C
    .language_version:
      - 2
      - 0
    .max_flat_workgroup_size: 128
    .name:           _ZL18rocblas_trtri_fillILi128E19rocblas_complex_numIfEPS1_EvP15_rocblas_handle13rocblas_fill_ililT1_llii
    .private_segment_fixed_size: 0
    .sgpr_count:     32
    .sgpr_spill_count: 0
    .symbol:         _ZL18rocblas_trtri_fillILi128E19rocblas_complex_numIfEPS1_EvP15_rocblas_handle13rocblas_fill_ililT1_llii.kd
    .uniform_work_group_size: 1
    .uses_dynamic_stack: false
    .vgpr_count:     26
    .vgpr_spill_count: 0
    .wavefront_size: 64
  - .agpr_count:     0
    .args:
      - .offset:         0
        .size:           4
        .value_kind:     by_value
      - .offset:         4
        .size:           4
        .value_kind:     by_value
      - .offset:         8
        .size:           4
        .value_kind:     by_value
      - .address_space:  global
        .offset:         16
        .size:           8
        .value_kind:     global_buffer
      - .offset:         24
        .size:           8
        .value_kind:     by_value
      - .offset:         32
        .size:           4
        .value_kind:     by_value
      - .offset:         40
        .size:           8
        .value_kind:     by_value
      - .offset:         48
        .size:           8
        .value_kind:     by_value
      - .address_space:  global
        .offset:         56
        .size:           8
        .value_kind:     global_buffer
      - .offset:         64
        .size:           8
        .value_kind:     by_value
      - .offset:         72
        .size:           4
        .value_kind:     by_value
      - .offset:         80
        .size:           8
        .value_kind:     by_value
      - .offset:         88
        .size:           8
        .value_kind:     by_value
      - .offset:         96
        .size:           4
        .value_kind:     by_value
    .group_segment_fixed_size: 2048
    .kernarg_segment_align: 8
    .kernarg_segment_size: 100
    .language:       OpenCL C
    .language_version:
      - 2
      - 0
    .max_flat_workgroup_size: 16
    .name:           _ZL26rocblas_trtri_small_kernelILi16E19rocblas_complex_numIfEPKS1_PS1_Ev13rocblas_fill_17rocblas_diagonal_iT1_lillT2_lilli
    .private_segment_fixed_size: 0
    .sgpr_count:     49
    .sgpr_spill_count: 0
    .symbol:         _ZL26rocblas_trtri_small_kernelILi16E19rocblas_complex_numIfEPKS1_PS1_Ev13rocblas_fill_17rocblas_diagonal_iT1_lillT2_lilli.kd
    .uniform_work_group_size: 1
    .uses_dynamic_stack: false
    .vgpr_count:     26
    .vgpr_spill_count: 0
    .wavefront_size: 64
  - .agpr_count:     0
    .args:
      - .offset:         0
        .size:           4
        .value_kind:     by_value
      - .offset:         4
        .size:           4
        .value_kind:     by_value
      - .offset:         8
        .size:           4
        .value_kind:     by_value
      - .address_space:  global
        .offset:         16
        .size:           8
        .value_kind:     global_buffer
      - .offset:         24
        .size:           8
        .value_kind:     by_value
      - .offset:         32
        .size:           4
        .value_kind:     by_value
      - .offset:         40
        .size:           8
        .value_kind:     by_value
      - .offset:         48
        .size:           8
        .value_kind:     by_value
      - .address_space:  global
        .offset:         56
        .size:           8
        .value_kind:     global_buffer
      - .offset:         64
        .size:           8
        .value_kind:     by_value
      - .offset:         72
        .size:           4
        .value_kind:     by_value
      - .offset:         80
        .size:           8
        .value_kind:     by_value
      - .offset:         88
        .size:           8
        .value_kind:     by_value
      - .offset:         96
        .size:           4
        .value_kind:     by_value
    .group_segment_fixed_size: 8192
    .kernarg_segment_align: 8
    .kernarg_segment_size: 100
    .language:       OpenCL C
    .language_version:
      - 2
      - 0
    .max_flat_workgroup_size: 256
    .name:           _ZL29rocblas_trtri_diagonal_kernelILi16E19rocblas_complex_numIfEPKS1_PS1_Ev13rocblas_fill_17rocblas_diagonal_iT1_lillT2_lilli
    .private_segment_fixed_size: 0
    .sgpr_count:     48
    .sgpr_spill_count: 0
    .symbol:         _ZL29rocblas_trtri_diagonal_kernelILi16E19rocblas_complex_numIfEPKS1_PS1_Ev13rocblas_fill_17rocblas_diagonal_iT1_lillT2_lilli.kd
    .uniform_work_group_size: 1
    .uses_dynamic_stack: false
    .vgpr_count:     64
    .vgpr_spill_count: 0
    .wavefront_size: 64
  - .agpr_count:     0
    .args:
      - .offset:         0
        .size:           4
        .value_kind:     by_value
      - .offset:         4
        .size:           4
        .value_kind:     by_value
      - .offset:         8
        .size:           4
        .value_kind:     by_value
      - .address_space:  global
        .offset:         16
        .size:           8
        .value_kind:     global_buffer
      - .offset:         24
        .size:           8
        .value_kind:     by_value
      - .offset:         32
        .size:           4
        .value_kind:     by_value
      - .offset:         40
        .size:           8
        .value_kind:     by_value
      - .offset:         48
        .size:           8
        .value_kind:     by_value
      - .address_space:  global
        .offset:         56
        .size:           8
        .value_kind:     global_buffer
      - .offset:         64
        .size:           8
        .value_kind:     by_value
      - .offset:         72
        .size:           4
        .value_kind:     by_value
      - .offset:         80
        .size:           8
        .value_kind:     by_value
      - .offset:         88
        .size:           8
        .value_kind:     by_value
      - .offset:         96
        .size:           4
        .value_kind:     by_value
    .group_segment_fixed_size: 8192
    .kernarg_segment_align: 8
    .kernarg_segment_size: 100
    .language:       OpenCL C
    .language_version:
      - 2
      - 0
    .max_flat_workgroup_size: 1024
    .name:           _ZL30rocblas_trtri_remainder_kernelILi16E19rocblas_complex_numIfEPKS1_PS1_Ev13rocblas_fill_17rocblas_diagonal_iT1_lillT2_lilli
    .private_segment_fixed_size: 0
    .sgpr_count:     49
    .sgpr_spill_count: 0
    .symbol:         _ZL30rocblas_trtri_remainder_kernelILi16E19rocblas_complex_numIfEPKS1_PS1_Ev13rocblas_fill_17rocblas_diagonal_iT1_lillT2_lilli.kd
    .uniform_work_group_size: 1
    .uses_dynamic_stack: false
    .vgpr_count:     26
    .vgpr_spill_count: 0
    .wavefront_size: 64
  - .agpr_count:     0
    .args:
      - .address_space:  global
        .offset:         0
        .size:           8
        .value_kind:     global_buffer
      - .offset:         8
        .size:           4
        .value_kind:     by_value
      - .offset:         12
        .size:           4
        .value_kind:     by_value
      - .offset:         16
        .size:           8
        .value_kind:     by_value
      - .offset:         24
        .size:           4
        .value_kind:     by_value
      - .offset:         32
        .size:           8
        .value_kind:     by_value
      - .address_space:  global
        .offset:         40
        .size:           8
        .value_kind:     global_buffer
      - .offset:         48
        .size:           8
        .value_kind:     by_value
      - .offset:         56
        .size:           8
        .value_kind:     by_value
      - .offset:         64
        .size:           4
        .value_kind:     by_value
      - .offset:         68
        .size:           4
        .value_kind:     by_value
      - .offset:         72
        .size:           4
        .value_kind:     hidden_block_count_x
      - .offset:         76
        .size:           4
        .value_kind:     hidden_block_count_y
      - .offset:         80
        .size:           4
        .value_kind:     hidden_block_count_z
      - .offset:         84
        .size:           2
        .value_kind:     hidden_group_size_x
      - .offset:         86
        .size:           2
        .value_kind:     hidden_group_size_y
      - .offset:         88
        .size:           2
        .value_kind:     hidden_group_size_z
      - .offset:         90
        .size:           2
        .value_kind:     hidden_remainder_x
      - .offset:         92
        .size:           2
        .value_kind:     hidden_remainder_y
      - .offset:         94
        .size:           2
        .value_kind:     hidden_remainder_z
      - .offset:         112
        .size:           8
        .value_kind:     hidden_global_offset_x
      - .offset:         120
        .size:           8
        .value_kind:     hidden_global_offset_y
      - .offset:         128
        .size:           8
        .value_kind:     hidden_global_offset_z
      - .offset:         136
        .size:           2
        .value_kind:     hidden_grid_dims
    .group_segment_fixed_size: 0
    .kernarg_segment_align: 8
    .kernarg_segment_size: 328
    .language:       OpenCL C
    .language_version:
      - 2
      - 0
    .max_flat_workgroup_size: 128
    .name:           _ZL18rocblas_trtri_fillILi128E19rocblas_complex_numIdEPS1_EvP15_rocblas_handle13rocblas_fill_ililT1_llii
    .private_segment_fixed_size: 0
    .sgpr_count:     32
    .sgpr_spill_count: 0
    .symbol:         _ZL18rocblas_trtri_fillILi128E19rocblas_complex_numIdEPS1_EvP15_rocblas_handle13rocblas_fill_ililT1_llii.kd
    .uniform_work_group_size: 1
    .uses_dynamic_stack: false
    .vgpr_count:     26
    .vgpr_spill_count: 0
    .wavefront_size: 64
  - .agpr_count:     0
    .args:
      - .offset:         0
        .size:           4
        .value_kind:     by_value
      - .offset:         4
        .size:           4
        .value_kind:     by_value
      - .offset:         8
        .size:           4
        .value_kind:     by_value
      - .address_space:  global
        .offset:         16
        .size:           8
        .value_kind:     global_buffer
      - .offset:         24
        .size:           8
        .value_kind:     by_value
      - .offset:         32
        .size:           4
        .value_kind:     by_value
      - .offset:         40
        .size:           8
        .value_kind:     by_value
      - .offset:         48
        .size:           8
        .value_kind:     by_value
      - .address_space:  global
        .offset:         56
        .size:           8
        .value_kind:     global_buffer
      - .offset:         64
        .size:           8
        .value_kind:     by_value
      - .offset:         72
        .size:           4
        .value_kind:     by_value
      - .offset:         80
        .size:           8
        .value_kind:     by_value
      - .offset:         88
        .size:           8
        .value_kind:     by_value
      - .offset:         96
        .size:           4
        .value_kind:     by_value
    .group_segment_fixed_size: 4096
    .kernarg_segment_align: 8
    .kernarg_segment_size: 100
    .language:       OpenCL C
    .language_version:
      - 2
      - 0
    .max_flat_workgroup_size: 16
    .name:           _ZL26rocblas_trtri_small_kernelILi16E19rocblas_complex_numIdEPKS1_PS1_Ev13rocblas_fill_17rocblas_diagonal_iT1_lillT2_lilli
    .private_segment_fixed_size: 0
    .sgpr_count:     49
    .sgpr_spill_count: 0
    .symbol:         _ZL26rocblas_trtri_small_kernelILi16E19rocblas_complex_numIdEPKS1_PS1_Ev13rocblas_fill_17rocblas_diagonal_iT1_lillT2_lilli.kd
    .uniform_work_group_size: 1
    .uses_dynamic_stack: false
    .vgpr_count:     34
    .vgpr_spill_count: 0
    .wavefront_size: 64
  - .agpr_count:     0
    .args:
      - .offset:         0
        .size:           4
        .value_kind:     by_value
      - .offset:         4
        .size:           4
        .value_kind:     by_value
      - .offset:         8
        .size:           4
        .value_kind:     by_value
      - .address_space:  global
        .offset:         16
        .size:           8
        .value_kind:     global_buffer
      - .offset:         24
        .size:           8
        .value_kind:     by_value
      - .offset:         32
        .size:           4
        .value_kind:     by_value
      - .offset:         40
        .size:           8
        .value_kind:     by_value
      - .offset:         48
        .size:           8
        .value_kind:     by_value
      - .address_space:  global
        .offset:         56
        .size:           8
        .value_kind:     global_buffer
      - .offset:         64
        .size:           8
        .value_kind:     by_value
      - .offset:         72
        .size:           4
        .value_kind:     by_value
      - .offset:         80
        .size:           8
        .value_kind:     by_value
      - .offset:         88
        .size:           8
        .value_kind:     by_value
      - .offset:         96
        .size:           4
        .value_kind:     by_value
    .group_segment_fixed_size: 16384
    .kernarg_segment_align: 8
    .kernarg_segment_size: 100
    .language:       OpenCL C
    .language_version:
      - 2
      - 0
    .max_flat_workgroup_size: 256
    .name:           _ZL29rocblas_trtri_diagonal_kernelILi16E19rocblas_complex_numIdEPKS1_PS1_Ev13rocblas_fill_17rocblas_diagonal_iT1_lillT2_lilli
    .private_segment_fixed_size: 0
    .sgpr_count:     48
    .sgpr_spill_count: 0
    .symbol:         _ZL29rocblas_trtri_diagonal_kernelILi16E19rocblas_complex_numIdEPKS1_PS1_Ev13rocblas_fill_17rocblas_diagonal_iT1_lillT2_lilli.kd
    .uniform_work_group_size: 1
    .uses_dynamic_stack: false
    .vgpr_count:     100
    .vgpr_spill_count: 0
    .wavefront_size: 64
  - .agpr_count:     0
    .args:
      - .offset:         0
        .size:           4
        .value_kind:     by_value
      - .offset:         4
        .size:           4
        .value_kind:     by_value
      - .offset:         8
        .size:           4
        .value_kind:     by_value
      - .address_space:  global
        .offset:         16
        .size:           8
        .value_kind:     global_buffer
      - .offset:         24
        .size:           8
        .value_kind:     by_value
      - .offset:         32
        .size:           4
        .value_kind:     by_value
      - .offset:         40
        .size:           8
        .value_kind:     by_value
      - .offset:         48
        .size:           8
        .value_kind:     by_value
      - .address_space:  global
        .offset:         56
        .size:           8
        .value_kind:     global_buffer
      - .offset:         64
        .size:           8
        .value_kind:     by_value
      - .offset:         72
        .size:           4
        .value_kind:     by_value
      - .offset:         80
        .size:           8
        .value_kind:     by_value
      - .offset:         88
        .size:           8
        .value_kind:     by_value
      - .offset:         96
        .size:           4
        .value_kind:     by_value
    .group_segment_fixed_size: 16384
    .kernarg_segment_align: 8
    .kernarg_segment_size: 100
    .language:       OpenCL C
    .language_version:
      - 2
      - 0
    .max_flat_workgroup_size: 1024
    .name:           _ZL30rocblas_trtri_remainder_kernelILi16E19rocblas_complex_numIdEPKS1_PS1_Ev13rocblas_fill_17rocblas_diagonal_iT1_lillT2_lilli
    .private_segment_fixed_size: 0
    .sgpr_count:     49
    .sgpr_spill_count: 0
    .symbol:         _ZL30rocblas_trtri_remainder_kernelILi16E19rocblas_complex_numIdEPKS1_PS1_Ev13rocblas_fill_17rocblas_diagonal_iT1_lillT2_lilli.kd
    .uniform_work_group_size: 1
    .uses_dynamic_stack: false
    .vgpr_count:     34
    .vgpr_spill_count: 0
    .wavefront_size: 64
  - .agpr_count:     0
    .args:
      - .address_space:  global
        .offset:         0
        .size:           8
        .value_kind:     global_buffer
      - .offset:         8
        .size:           4
        .value_kind:     by_value
      - .offset:         12
        .size:           4
        .value_kind:     by_value
      - .offset:         16
        .size:           8
        .value_kind:     by_value
      - .offset:         24
        .size:           4
        .value_kind:     by_value
      - .offset:         32
        .size:           8
        .value_kind:     by_value
      - .address_space:  global
        .offset:         40
        .size:           8
        .value_kind:     global_buffer
      - .offset:         48
        .size:           8
        .value_kind:     by_value
      - .offset:         56
        .size:           8
        .value_kind:     by_value
      - .offset:         64
        .size:           4
        .value_kind:     by_value
      - .offset:         68
        .size:           4
        .value_kind:     by_value
      - .offset:         72
        .size:           4
        .value_kind:     hidden_block_count_x
      - .offset:         76
        .size:           4
        .value_kind:     hidden_block_count_y
      - .offset:         80
        .size:           4
        .value_kind:     hidden_block_count_z
      - .offset:         84
        .size:           2
        .value_kind:     hidden_group_size_x
      - .offset:         86
        .size:           2
        .value_kind:     hidden_group_size_y
      - .offset:         88
        .size:           2
        .value_kind:     hidden_group_size_z
      - .offset:         90
        .size:           2
        .value_kind:     hidden_remainder_x
      - .offset:         92
        .size:           2
        .value_kind:     hidden_remainder_y
      - .offset:         94
        .size:           2
        .value_kind:     hidden_remainder_z
      - .offset:         112
        .size:           8
        .value_kind:     hidden_global_offset_x
      - .offset:         120
        .size:           8
        .value_kind:     hidden_global_offset_y
      - .offset:         128
        .size:           8
        .value_kind:     hidden_global_offset_z
      - .offset:         136
        .size:           2
        .value_kind:     hidden_grid_dims
    .group_segment_fixed_size: 0
    .kernarg_segment_align: 8
    .kernarg_segment_size: 328
    .language:       OpenCL C
    .language_version:
      - 2
      - 0
    .max_flat_workgroup_size: 128
    .name:           _ZL18rocblas_trtri_fillILi128EfPKPfEvP15_rocblas_handle13rocblas_fill_ililT1_llii
    .private_segment_fixed_size: 0
    .sgpr_count:     32
    .sgpr_spill_count: 0
    .symbol:         _ZL18rocblas_trtri_fillILi128EfPKPfEvP15_rocblas_handle13rocblas_fill_ililT1_llii.kd
    .uniform_work_group_size: 1
    .uses_dynamic_stack: false
    .vgpr_count:     26
    .vgpr_spill_count: 0
    .wavefront_size: 64
  - .agpr_count:     0
    .args:
      - .offset:         0
        .size:           4
        .value_kind:     by_value
      - .offset:         4
        .size:           4
        .value_kind:     by_value
      - .offset:         8
        .size:           4
        .value_kind:     by_value
      - .address_space:  global
        .offset:         16
        .size:           8
        .value_kind:     global_buffer
      - .offset:         24
        .size:           8
        .value_kind:     by_value
      - .offset:         32
        .size:           4
        .value_kind:     by_value
      - .offset:         40
        .size:           8
        .value_kind:     by_value
      - .offset:         48
        .size:           8
        .value_kind:     by_value
      - .address_space:  global
        .offset:         56
        .size:           8
        .value_kind:     global_buffer
      - .offset:         64
        .size:           8
        .value_kind:     by_value
      - .offset:         72
        .size:           4
        .value_kind:     by_value
      - .offset:         80
        .size:           8
        .value_kind:     by_value
      - .offset:         88
        .size:           8
        .value_kind:     by_value
      - .offset:         96
        .size:           4
        .value_kind:     by_value
    .group_segment_fixed_size: 1024
    .kernarg_segment_align: 8
    .kernarg_segment_size: 100
    .language:       OpenCL C
    .language_version:
      - 2
      - 0
    .max_flat_workgroup_size: 16
    .name:           _ZL26rocblas_trtri_small_kernelILi16EfPKPKfPKPfEv13rocblas_fill_17rocblas_diagonal_iT1_lillT2_lilli
    .private_segment_fixed_size: 0
    .sgpr_count:     47
    .sgpr_spill_count: 0
    .symbol:         _ZL26rocblas_trtri_small_kernelILi16EfPKPKfPKPfEv13rocblas_fill_17rocblas_diagonal_iT1_lillT2_lilli.kd
    .uniform_work_group_size: 1
    .uses_dynamic_stack: false
    .vgpr_count:     11
    .vgpr_spill_count: 0
    .wavefront_size: 64
  - .agpr_count:     0
    .args:
      - .offset:         0
        .size:           4
        .value_kind:     by_value
      - .offset:         4
        .size:           4
        .value_kind:     by_value
      - .offset:         8
        .size:           4
        .value_kind:     by_value
      - .address_space:  global
        .offset:         16
        .size:           8
        .value_kind:     global_buffer
      - .offset:         24
        .size:           8
        .value_kind:     by_value
      - .offset:         32
        .size:           4
        .value_kind:     by_value
      - .offset:         40
        .size:           8
        .value_kind:     by_value
      - .offset:         48
        .size:           8
        .value_kind:     by_value
      - .address_space:  global
        .offset:         56
        .size:           8
        .value_kind:     global_buffer
      - .offset:         64
        .size:           8
        .value_kind:     by_value
      - .offset:         72
        .size:           4
        .value_kind:     by_value
      - .offset:         80
        .size:           8
        .value_kind:     by_value
      - .offset:         88
        .size:           8
        .value_kind:     by_value
      - .offset:         96
        .size:           4
        .value_kind:     by_value
    .group_segment_fixed_size: 4096
    .kernarg_segment_align: 8
    .kernarg_segment_size: 100
    .language:       OpenCL C
    .language_version:
      - 2
      - 0
    .max_flat_workgroup_size: 256
    .name:           _ZL29rocblas_trtri_diagonal_kernelILi16EfPKPKfPKPfEv13rocblas_fill_17rocblas_diagonal_iT1_lillT2_lilli
    .private_segment_fixed_size: 0
    .sgpr_count:     50
    .sgpr_spill_count: 0
    .symbol:         _ZL29rocblas_trtri_diagonal_kernelILi16EfPKPKfPKPfEv13rocblas_fill_17rocblas_diagonal_iT1_lillT2_lilli.kd
    .uniform_work_group_size: 1
    .uses_dynamic_stack: false
    .vgpr_count:     33
    .vgpr_spill_count: 0
    .wavefront_size: 64
  - .agpr_count:     0
    .args:
      - .offset:         0
        .size:           4
        .value_kind:     by_value
      - .offset:         4
        .size:           4
        .value_kind:     by_value
      - .offset:         8
        .size:           4
        .value_kind:     by_value
      - .address_space:  global
        .offset:         16
        .size:           8
        .value_kind:     global_buffer
      - .offset:         24
        .size:           8
        .value_kind:     by_value
      - .offset:         32
        .size:           4
        .value_kind:     by_value
      - .offset:         40
        .size:           8
        .value_kind:     by_value
      - .offset:         48
        .size:           8
        .value_kind:     by_value
      - .address_space:  global
        .offset:         56
        .size:           8
        .value_kind:     global_buffer
      - .offset:         64
        .size:           8
        .value_kind:     by_value
      - .offset:         72
        .size:           4
        .value_kind:     by_value
      - .offset:         80
        .size:           8
        .value_kind:     by_value
      - .offset:         88
        .size:           8
        .value_kind:     by_value
      - .offset:         96
        .size:           4
        .value_kind:     by_value
    .group_segment_fixed_size: 4096
    .kernarg_segment_align: 8
    .kernarg_segment_size: 100
    .language:       OpenCL C
    .language_version:
      - 2
      - 0
    .max_flat_workgroup_size: 1024
    .name:           _ZL30rocblas_trtri_remainder_kernelILi16EfPKPKfPKPfEv13rocblas_fill_17rocblas_diagonal_iT1_lillT2_lilli
    .private_segment_fixed_size: 0
    .sgpr_count:     47
    .sgpr_spill_count: 0
    .symbol:         _ZL30rocblas_trtri_remainder_kernelILi16EfPKPKfPKPfEv13rocblas_fill_17rocblas_diagonal_iT1_lillT2_lilli.kd
    .uniform_work_group_size: 1
    .uses_dynamic_stack: false
    .vgpr_count:     11
    .vgpr_spill_count: 0
    .wavefront_size: 64
  - .agpr_count:     0
    .args:
      - .address_space:  global
        .offset:         0
        .size:           8
        .value_kind:     global_buffer
      - .offset:         8
        .size:           4
        .value_kind:     by_value
      - .offset:         12
        .size:           4
        .value_kind:     by_value
      - .offset:         16
        .size:           8
        .value_kind:     by_value
      - .offset:         24
        .size:           4
        .value_kind:     by_value
      - .offset:         32
        .size:           8
        .value_kind:     by_value
      - .address_space:  global
        .offset:         40
        .size:           8
        .value_kind:     global_buffer
      - .offset:         48
        .size:           8
        .value_kind:     by_value
      - .offset:         56
        .size:           8
        .value_kind:     by_value
      - .offset:         64
        .size:           4
        .value_kind:     by_value
      - .offset:         68
        .size:           4
        .value_kind:     by_value
      - .offset:         72
        .size:           4
        .value_kind:     hidden_block_count_x
      - .offset:         76
        .size:           4
        .value_kind:     hidden_block_count_y
      - .offset:         80
        .size:           4
        .value_kind:     hidden_block_count_z
      - .offset:         84
        .size:           2
        .value_kind:     hidden_group_size_x
      - .offset:         86
        .size:           2
        .value_kind:     hidden_group_size_y
      - .offset:         88
        .size:           2
        .value_kind:     hidden_group_size_z
      - .offset:         90
        .size:           2
        .value_kind:     hidden_remainder_x
      - .offset:         92
        .size:           2
        .value_kind:     hidden_remainder_y
      - .offset:         94
        .size:           2
        .value_kind:     hidden_remainder_z
      - .offset:         112
        .size:           8
        .value_kind:     hidden_global_offset_x
      - .offset:         120
        .size:           8
        .value_kind:     hidden_global_offset_y
      - .offset:         128
        .size:           8
        .value_kind:     hidden_global_offset_z
      - .offset:         136
        .size:           2
        .value_kind:     hidden_grid_dims
    .group_segment_fixed_size: 0
    .kernarg_segment_align: 8
    .kernarg_segment_size: 328
    .language:       OpenCL C
    .language_version:
      - 2
      - 0
    .max_flat_workgroup_size: 128
    .name:           _ZL18rocblas_trtri_fillILi128EdPKPdEvP15_rocblas_handle13rocblas_fill_ililT1_llii
    .private_segment_fixed_size: 0
    .sgpr_count:     32
    .sgpr_spill_count: 0
    .symbol:         _ZL18rocblas_trtri_fillILi128EdPKPdEvP15_rocblas_handle13rocblas_fill_ililT1_llii.kd
    .uniform_work_group_size: 1
    .uses_dynamic_stack: false
    .vgpr_count:     26
    .vgpr_spill_count: 0
    .wavefront_size: 64
  - .agpr_count:     0
    .args:
      - .offset:         0
        .size:           4
        .value_kind:     by_value
      - .offset:         4
        .size:           4
        .value_kind:     by_value
      - .offset:         8
        .size:           4
        .value_kind:     by_value
      - .address_space:  global
        .offset:         16
        .size:           8
        .value_kind:     global_buffer
      - .offset:         24
        .size:           8
        .value_kind:     by_value
      - .offset:         32
        .size:           4
        .value_kind:     by_value
      - .offset:         40
        .size:           8
        .value_kind:     by_value
      - .offset:         48
        .size:           8
        .value_kind:     by_value
      - .address_space:  global
        .offset:         56
        .size:           8
        .value_kind:     global_buffer
      - .offset:         64
        .size:           8
        .value_kind:     by_value
      - .offset:         72
        .size:           4
        .value_kind:     by_value
      - .offset:         80
        .size:           8
        .value_kind:     by_value
      - .offset:         88
        .size:           8
        .value_kind:     by_value
      - .offset:         96
        .size:           4
        .value_kind:     by_value
    .group_segment_fixed_size: 2048
    .kernarg_segment_align: 8
    .kernarg_segment_size: 100
    .language:       OpenCL C
    .language_version:
      - 2
      - 0
    .max_flat_workgroup_size: 16
    .name:           _ZL26rocblas_trtri_small_kernelILi16EdPKPKdPKPdEv13rocblas_fill_17rocblas_diagonal_iT1_lillT2_lilli
    .private_segment_fixed_size: 0
    .sgpr_count:     46
    .sgpr_spill_count: 0
    .symbol:         _ZL26rocblas_trtri_small_kernelILi16EdPKPKdPKPdEv13rocblas_fill_17rocblas_diagonal_iT1_lillT2_lilli.kd
    .uniform_work_group_size: 1
    .uses_dynamic_stack: false
    .vgpr_count:     26
    .vgpr_spill_count: 0
    .wavefront_size: 64
  - .agpr_count:     0
    .args:
      - .offset:         0
        .size:           4
        .value_kind:     by_value
      - .offset:         4
        .size:           4
        .value_kind:     by_value
      - .offset:         8
        .size:           4
        .value_kind:     by_value
      - .address_space:  global
        .offset:         16
        .size:           8
        .value_kind:     global_buffer
      - .offset:         24
        .size:           8
        .value_kind:     by_value
      - .offset:         32
        .size:           4
        .value_kind:     by_value
      - .offset:         40
        .size:           8
        .value_kind:     by_value
      - .offset:         48
        .size:           8
        .value_kind:     by_value
      - .address_space:  global
        .offset:         56
        .size:           8
        .value_kind:     global_buffer
      - .offset:         64
        .size:           8
        .value_kind:     by_value
      - .offset:         72
        .size:           4
        .value_kind:     by_value
      - .offset:         80
        .size:           8
        .value_kind:     by_value
      - .offset:         88
        .size:           8
        .value_kind:     by_value
      - .offset:         96
        .size:           4
        .value_kind:     by_value
    .group_segment_fixed_size: 8192
    .kernarg_segment_align: 8
    .kernarg_segment_size: 100
    .language:       OpenCL C
    .language_version:
      - 2
      - 0
    .max_flat_workgroup_size: 256
    .name:           _ZL29rocblas_trtri_diagonal_kernelILi16EdPKPKdPKPdEv13rocblas_fill_17rocblas_diagonal_iT1_lillT2_lilli
    .private_segment_fixed_size: 0
    .sgpr_count:     44
    .sgpr_spill_count: 0
    .symbol:         _ZL29rocblas_trtri_diagonal_kernelILi16EdPKPKdPKPdEv13rocblas_fill_17rocblas_diagonal_iT1_lillT2_lilli.kd
    .uniform_work_group_size: 1
    .uses_dynamic_stack: false
    .vgpr_count:     54
    .vgpr_spill_count: 0
    .wavefront_size: 64
  - .agpr_count:     0
    .args:
      - .offset:         0
        .size:           4
        .value_kind:     by_value
      - .offset:         4
        .size:           4
        .value_kind:     by_value
      - .offset:         8
        .size:           4
        .value_kind:     by_value
      - .address_space:  global
        .offset:         16
        .size:           8
        .value_kind:     global_buffer
      - .offset:         24
        .size:           8
        .value_kind:     by_value
      - .offset:         32
        .size:           4
        .value_kind:     by_value
      - .offset:         40
        .size:           8
        .value_kind:     by_value
      - .offset:         48
        .size:           8
        .value_kind:     by_value
      - .address_space:  global
        .offset:         56
        .size:           8
        .value_kind:     global_buffer
      - .offset:         64
        .size:           8
        .value_kind:     by_value
      - .offset:         72
        .size:           4
        .value_kind:     by_value
      - .offset:         80
        .size:           8
        .value_kind:     by_value
      - .offset:         88
        .size:           8
        .value_kind:     by_value
      - .offset:         96
        .size:           4
        .value_kind:     by_value
    .group_segment_fixed_size: 8192
    .kernarg_segment_align: 8
    .kernarg_segment_size: 100
    .language:       OpenCL C
    .language_version:
      - 2
      - 0
    .max_flat_workgroup_size: 1024
    .name:           _ZL30rocblas_trtri_remainder_kernelILi16EdPKPKdPKPdEv13rocblas_fill_17rocblas_diagonal_iT1_lillT2_lilli
    .private_segment_fixed_size: 0
    .sgpr_count:     46
    .sgpr_spill_count: 0
    .symbol:         _ZL30rocblas_trtri_remainder_kernelILi16EdPKPKdPKPdEv13rocblas_fill_17rocblas_diagonal_iT1_lillT2_lilli.kd
    .uniform_work_group_size: 1
    .uses_dynamic_stack: false
    .vgpr_count:     26
    .vgpr_spill_count: 0
    .wavefront_size: 64
  - .agpr_count:     0
    .args:
      - .address_space:  global
        .offset:         0
        .size:           8
        .value_kind:     global_buffer
      - .offset:         8
        .size:           4
        .value_kind:     by_value
      - .offset:         12
        .size:           4
        .value_kind:     by_value
      - .offset:         16
        .size:           8
        .value_kind:     by_value
      - .offset:         24
        .size:           4
        .value_kind:     by_value
      - .offset:         32
        .size:           8
        .value_kind:     by_value
      - .address_space:  global
        .offset:         40
        .size:           8
        .value_kind:     global_buffer
      - .offset:         48
        .size:           8
        .value_kind:     by_value
      - .offset:         56
        .size:           8
        .value_kind:     by_value
      - .offset:         64
        .size:           4
        .value_kind:     by_value
      - .offset:         68
        .size:           4
        .value_kind:     by_value
      - .offset:         72
        .size:           4
        .value_kind:     hidden_block_count_x
      - .offset:         76
        .size:           4
        .value_kind:     hidden_block_count_y
      - .offset:         80
        .size:           4
        .value_kind:     hidden_block_count_z
      - .offset:         84
        .size:           2
        .value_kind:     hidden_group_size_x
      - .offset:         86
        .size:           2
        .value_kind:     hidden_group_size_y
      - .offset:         88
        .size:           2
        .value_kind:     hidden_group_size_z
      - .offset:         90
        .size:           2
        .value_kind:     hidden_remainder_x
      - .offset:         92
        .size:           2
        .value_kind:     hidden_remainder_y
      - .offset:         94
        .size:           2
        .value_kind:     hidden_remainder_z
      - .offset:         112
        .size:           8
        .value_kind:     hidden_global_offset_x
      - .offset:         120
        .size:           8
        .value_kind:     hidden_global_offset_y
      - .offset:         128
        .size:           8
        .value_kind:     hidden_global_offset_z
      - .offset:         136
        .size:           2
        .value_kind:     hidden_grid_dims
    .group_segment_fixed_size: 0
    .kernarg_segment_align: 8
    .kernarg_segment_size: 328
    .language:       OpenCL C
    .language_version:
      - 2
      - 0
    .max_flat_workgroup_size: 128
    .name:           _ZL18rocblas_trtri_fillILi128E19rocblas_complex_numIfEPKPS1_EvP15_rocblas_handle13rocblas_fill_ililT1_llii
    .private_segment_fixed_size: 0
    .sgpr_count:     32
    .sgpr_spill_count: 0
    .symbol:         _ZL18rocblas_trtri_fillILi128E19rocblas_complex_numIfEPKPS1_EvP15_rocblas_handle13rocblas_fill_ililT1_llii.kd
    .uniform_work_group_size: 1
    .uses_dynamic_stack: false
    .vgpr_count:     26
    .vgpr_spill_count: 0
    .wavefront_size: 64
  - .agpr_count:     0
    .args:
      - .offset:         0
        .size:           4
        .value_kind:     by_value
      - .offset:         4
        .size:           4
        .value_kind:     by_value
      - .offset:         8
        .size:           4
        .value_kind:     by_value
      - .address_space:  global
        .offset:         16
        .size:           8
        .value_kind:     global_buffer
      - .offset:         24
        .size:           8
        .value_kind:     by_value
      - .offset:         32
        .size:           4
        .value_kind:     by_value
      - .offset:         40
        .size:           8
        .value_kind:     by_value
      - .offset:         48
        .size:           8
        .value_kind:     by_value
      - .address_space:  global
        .offset:         56
        .size:           8
        .value_kind:     global_buffer
      - .offset:         64
        .size:           8
        .value_kind:     by_value
      - .offset:         72
        .size:           4
        .value_kind:     by_value
      - .offset:         80
        .size:           8
        .value_kind:     by_value
      - .offset:         88
        .size:           8
        .value_kind:     by_value
      - .offset:         96
        .size:           4
        .value_kind:     by_value
    .group_segment_fixed_size: 2048
    .kernarg_segment_align: 8
    .kernarg_segment_size: 100
    .language:       OpenCL C
    .language_version:
      - 2
      - 0
    .max_flat_workgroup_size: 16
    .name:           _ZL26rocblas_trtri_small_kernelILi16E19rocblas_complex_numIfEPKPKS1_PKPS1_Ev13rocblas_fill_17rocblas_diagonal_iT1_lillT2_lilli
    .private_segment_fixed_size: 0
    .sgpr_count:     46
    .sgpr_spill_count: 0
    .symbol:         _ZL26rocblas_trtri_small_kernelILi16E19rocblas_complex_numIfEPKPKS1_PKPS1_Ev13rocblas_fill_17rocblas_diagonal_iT1_lillT2_lilli.kd
    .uniform_work_group_size: 1
    .uses_dynamic_stack: false
    .vgpr_count:     26
    .vgpr_spill_count: 0
    .wavefront_size: 64
  - .agpr_count:     0
    .args:
      - .offset:         0
        .size:           4
        .value_kind:     by_value
      - .offset:         4
        .size:           4
        .value_kind:     by_value
      - .offset:         8
        .size:           4
        .value_kind:     by_value
      - .address_space:  global
        .offset:         16
        .size:           8
        .value_kind:     global_buffer
      - .offset:         24
        .size:           8
        .value_kind:     by_value
      - .offset:         32
        .size:           4
        .value_kind:     by_value
      - .offset:         40
        .size:           8
        .value_kind:     by_value
      - .offset:         48
        .size:           8
        .value_kind:     by_value
      - .address_space:  global
        .offset:         56
        .size:           8
        .value_kind:     global_buffer
      - .offset:         64
        .size:           8
        .value_kind:     by_value
      - .offset:         72
        .size:           4
        .value_kind:     by_value
      - .offset:         80
        .size:           8
        .value_kind:     by_value
      - .offset:         88
        .size:           8
        .value_kind:     by_value
      - .offset:         96
        .size:           4
        .value_kind:     by_value
    .group_segment_fixed_size: 8192
    .kernarg_segment_align: 8
    .kernarg_segment_size: 100
    .language:       OpenCL C
    .language_version:
      - 2
      - 0
    .max_flat_workgroup_size: 256
    .name:           _ZL29rocblas_trtri_diagonal_kernelILi16E19rocblas_complex_numIfEPKPKS1_PKPS1_Ev13rocblas_fill_17rocblas_diagonal_iT1_lillT2_lilli
    .private_segment_fixed_size: 0
    .sgpr_count:     44
    .sgpr_spill_count: 0
    .symbol:         _ZL29rocblas_trtri_diagonal_kernelILi16E19rocblas_complex_numIfEPKPKS1_PKPS1_Ev13rocblas_fill_17rocblas_diagonal_iT1_lillT2_lilli.kd
    .uniform_work_group_size: 1
    .uses_dynamic_stack: false
    .vgpr_count:     64
    .vgpr_spill_count: 0
    .wavefront_size: 64
  - .agpr_count:     0
    .args:
      - .offset:         0
        .size:           4
        .value_kind:     by_value
      - .offset:         4
        .size:           4
        .value_kind:     by_value
      - .offset:         8
        .size:           4
        .value_kind:     by_value
      - .address_space:  global
        .offset:         16
        .size:           8
        .value_kind:     global_buffer
      - .offset:         24
        .size:           8
        .value_kind:     by_value
      - .offset:         32
        .size:           4
        .value_kind:     by_value
      - .offset:         40
        .size:           8
        .value_kind:     by_value
      - .offset:         48
        .size:           8
        .value_kind:     by_value
      - .address_space:  global
        .offset:         56
        .size:           8
        .value_kind:     global_buffer
      - .offset:         64
        .size:           8
        .value_kind:     by_value
      - .offset:         72
        .size:           4
        .value_kind:     by_value
      - .offset:         80
        .size:           8
        .value_kind:     by_value
      - .offset:         88
        .size:           8
        .value_kind:     by_value
      - .offset:         96
        .size:           4
        .value_kind:     by_value
    .group_segment_fixed_size: 8192
    .kernarg_segment_align: 8
    .kernarg_segment_size: 100
    .language:       OpenCL C
    .language_version:
      - 2
      - 0
    .max_flat_workgroup_size: 1024
    .name:           _ZL30rocblas_trtri_remainder_kernelILi16E19rocblas_complex_numIfEPKPKS1_PKPS1_Ev13rocblas_fill_17rocblas_diagonal_iT1_lillT2_lilli
    .private_segment_fixed_size: 0
    .sgpr_count:     46
    .sgpr_spill_count: 0
    .symbol:         _ZL30rocblas_trtri_remainder_kernelILi16E19rocblas_complex_numIfEPKPKS1_PKPS1_Ev13rocblas_fill_17rocblas_diagonal_iT1_lillT2_lilli.kd
    .uniform_work_group_size: 1
    .uses_dynamic_stack: false
    .vgpr_count:     26
    .vgpr_spill_count: 0
    .wavefront_size: 64
  - .agpr_count:     0
    .args:
      - .address_space:  global
        .offset:         0
        .size:           8
        .value_kind:     global_buffer
      - .offset:         8
        .size:           4
        .value_kind:     by_value
      - .offset:         12
        .size:           4
        .value_kind:     by_value
      - .offset:         16
        .size:           8
        .value_kind:     by_value
      - .offset:         24
        .size:           4
        .value_kind:     by_value
      - .offset:         32
        .size:           8
        .value_kind:     by_value
      - .address_space:  global
        .offset:         40
        .size:           8
        .value_kind:     global_buffer
      - .offset:         48
        .size:           8
        .value_kind:     by_value
      - .offset:         56
        .size:           8
        .value_kind:     by_value
      - .offset:         64
        .size:           4
        .value_kind:     by_value
      - .offset:         68
        .size:           4
        .value_kind:     by_value
      - .offset:         72
        .size:           4
        .value_kind:     hidden_block_count_x
      - .offset:         76
        .size:           4
        .value_kind:     hidden_block_count_y
      - .offset:         80
        .size:           4
        .value_kind:     hidden_block_count_z
      - .offset:         84
        .size:           2
        .value_kind:     hidden_group_size_x
      - .offset:         86
        .size:           2
        .value_kind:     hidden_group_size_y
      - .offset:         88
        .size:           2
        .value_kind:     hidden_group_size_z
      - .offset:         90
        .size:           2
        .value_kind:     hidden_remainder_x
      - .offset:         92
        .size:           2
        .value_kind:     hidden_remainder_y
      - .offset:         94
        .size:           2
        .value_kind:     hidden_remainder_z
      - .offset:         112
        .size:           8
        .value_kind:     hidden_global_offset_x
      - .offset:         120
        .size:           8
        .value_kind:     hidden_global_offset_y
      - .offset:         128
        .size:           8
        .value_kind:     hidden_global_offset_z
      - .offset:         136
        .size:           2
        .value_kind:     hidden_grid_dims
    .group_segment_fixed_size: 0
    .kernarg_segment_align: 8
    .kernarg_segment_size: 328
    .language:       OpenCL C
    .language_version:
      - 2
      - 0
    .max_flat_workgroup_size: 128
    .name:           _ZL18rocblas_trtri_fillILi128E19rocblas_complex_numIdEPKPS1_EvP15_rocblas_handle13rocblas_fill_ililT1_llii
    .private_segment_fixed_size: 0
    .sgpr_count:     32
    .sgpr_spill_count: 0
    .symbol:         _ZL18rocblas_trtri_fillILi128E19rocblas_complex_numIdEPKPS1_EvP15_rocblas_handle13rocblas_fill_ililT1_llii.kd
    .uniform_work_group_size: 1
    .uses_dynamic_stack: false
    .vgpr_count:     26
    .vgpr_spill_count: 0
    .wavefront_size: 64
  - .agpr_count:     0
    .args:
      - .offset:         0
        .size:           4
        .value_kind:     by_value
      - .offset:         4
        .size:           4
        .value_kind:     by_value
      - .offset:         8
        .size:           4
        .value_kind:     by_value
      - .address_space:  global
        .offset:         16
        .size:           8
        .value_kind:     global_buffer
      - .offset:         24
        .size:           8
        .value_kind:     by_value
      - .offset:         32
        .size:           4
        .value_kind:     by_value
      - .offset:         40
        .size:           8
        .value_kind:     by_value
      - .offset:         48
        .size:           8
        .value_kind:     by_value
      - .address_space:  global
        .offset:         56
        .size:           8
        .value_kind:     global_buffer
      - .offset:         64
        .size:           8
        .value_kind:     by_value
      - .offset:         72
        .size:           4
        .value_kind:     by_value
      - .offset:         80
        .size:           8
        .value_kind:     by_value
      - .offset:         88
        .size:           8
        .value_kind:     by_value
      - .offset:         96
        .size:           4
        .value_kind:     by_value
    .group_segment_fixed_size: 4096
    .kernarg_segment_align: 8
    .kernarg_segment_size: 100
    .language:       OpenCL C
    .language_version:
      - 2
      - 0
    .max_flat_workgroup_size: 16
    .name:           _ZL26rocblas_trtri_small_kernelILi16E19rocblas_complex_numIdEPKPKS1_PKPS1_Ev13rocblas_fill_17rocblas_diagonal_iT1_lillT2_lilli
    .private_segment_fixed_size: 0
    .sgpr_count:     46
    .sgpr_spill_count: 0
    .symbol:         _ZL26rocblas_trtri_small_kernelILi16E19rocblas_complex_numIdEPKPKS1_PKPS1_Ev13rocblas_fill_17rocblas_diagonal_iT1_lillT2_lilli.kd
    .uniform_work_group_size: 1
    .uses_dynamic_stack: false
    .vgpr_count:     34
    .vgpr_spill_count: 0
    .wavefront_size: 64
  - .agpr_count:     0
    .args:
      - .offset:         0
        .size:           4
        .value_kind:     by_value
      - .offset:         4
        .size:           4
        .value_kind:     by_value
      - .offset:         8
        .size:           4
        .value_kind:     by_value
      - .address_space:  global
        .offset:         16
        .size:           8
        .value_kind:     global_buffer
      - .offset:         24
        .size:           8
        .value_kind:     by_value
      - .offset:         32
        .size:           4
        .value_kind:     by_value
      - .offset:         40
        .size:           8
        .value_kind:     by_value
      - .offset:         48
        .size:           8
        .value_kind:     by_value
      - .address_space:  global
        .offset:         56
        .size:           8
        .value_kind:     global_buffer
      - .offset:         64
        .size:           8
        .value_kind:     by_value
      - .offset:         72
        .size:           4
        .value_kind:     by_value
      - .offset:         80
        .size:           8
        .value_kind:     by_value
      - .offset:         88
        .size:           8
        .value_kind:     by_value
      - .offset:         96
        .size:           4
        .value_kind:     by_value
    .group_segment_fixed_size: 16384
    .kernarg_segment_align: 8
    .kernarg_segment_size: 100
    .language:       OpenCL C
    .language_version:
      - 2
      - 0
    .max_flat_workgroup_size: 256
    .name:           _ZL29rocblas_trtri_diagonal_kernelILi16E19rocblas_complex_numIdEPKPKS1_PKPS1_Ev13rocblas_fill_17rocblas_diagonal_iT1_lillT2_lilli
    .private_segment_fixed_size: 0
    .sgpr_count:     44
    .sgpr_spill_count: 0
    .symbol:         _ZL29rocblas_trtri_diagonal_kernelILi16E19rocblas_complex_numIdEPKPKS1_PKPS1_Ev13rocblas_fill_17rocblas_diagonal_iT1_lillT2_lilli.kd
    .uniform_work_group_size: 1
    .uses_dynamic_stack: false
    .vgpr_count:     100
    .vgpr_spill_count: 0
    .wavefront_size: 64
  - .agpr_count:     0
    .args:
      - .offset:         0
        .size:           4
        .value_kind:     by_value
      - .offset:         4
        .size:           4
        .value_kind:     by_value
      - .offset:         8
        .size:           4
        .value_kind:     by_value
      - .address_space:  global
        .offset:         16
        .size:           8
        .value_kind:     global_buffer
      - .offset:         24
        .size:           8
        .value_kind:     by_value
      - .offset:         32
        .size:           4
        .value_kind:     by_value
      - .offset:         40
        .size:           8
        .value_kind:     by_value
      - .offset:         48
        .size:           8
        .value_kind:     by_value
      - .address_space:  global
        .offset:         56
        .size:           8
        .value_kind:     global_buffer
      - .offset:         64
        .size:           8
        .value_kind:     by_value
      - .offset:         72
        .size:           4
        .value_kind:     by_value
      - .offset:         80
        .size:           8
        .value_kind:     by_value
      - .offset:         88
        .size:           8
        .value_kind:     by_value
      - .offset:         96
        .size:           4
        .value_kind:     by_value
    .group_segment_fixed_size: 16384
    .kernarg_segment_align: 8
    .kernarg_segment_size: 100
    .language:       OpenCL C
    .language_version:
      - 2
      - 0
    .max_flat_workgroup_size: 1024
    .name:           _ZL30rocblas_trtri_remainder_kernelILi16E19rocblas_complex_numIdEPKPKS1_PKPS1_Ev13rocblas_fill_17rocblas_diagonal_iT1_lillT2_lilli
    .private_segment_fixed_size: 0
    .sgpr_count:     46
    .sgpr_spill_count: 0
    .symbol:         _ZL30rocblas_trtri_remainder_kernelILi16E19rocblas_complex_numIdEPKPKS1_PKPS1_Ev13rocblas_fill_17rocblas_diagonal_iT1_lillT2_lilli.kd
    .uniform_work_group_size: 1
    .uses_dynamic_stack: false
    .vgpr_count:     34
    .vgpr_spill_count: 0
    .wavefront_size: 64
amdhsa.target:   amdgcn-amd-amdhsa--gfx90a
amdhsa.version:
  - 1
  - 2
...

	.end_amdgpu_metadata
